;; amdgpu-corpus repo=ROCm/rocFFT kind=compiled arch=gfx1201 opt=O3
	.text
	.amdgcn_target "amdgcn-amd-amdhsa--gfx1201"
	.amdhsa_code_object_version 6
	.protected	bluestein_single_fwd_len975_dim1_dp_op_CI_CI ; -- Begin function bluestein_single_fwd_len975_dim1_dp_op_CI_CI
	.globl	bluestein_single_fwd_len975_dim1_dp_op_CI_CI
	.p2align	8
	.type	bluestein_single_fwd_len975_dim1_dp_op_CI_CI,@function
bluestein_single_fwd_len975_dim1_dp_op_CI_CI: ; @bluestein_single_fwd_len975_dim1_dp_op_CI_CI
; %bb.0:
	s_load_b128 s[12:15], s[0:1], 0x28
	v_mul_u32_u24_e32 v1, 0x691, v0
	s_mov_b32 s2, exec_lo
	s_delay_alu instid0(VALU_DEP_1) | instskip(NEXT) | instid1(VALU_DEP_1)
	v_lshrrev_b32_e32 v1, 16, v1
	v_mad_co_u64_u32 v[3:4], null, ttmp9, 3, v[1:2]
	v_mov_b32_e32 v4, 0
	s_wait_kmcnt 0x0
	s_delay_alu instid0(VALU_DEP_1)
	v_cmpx_gt_u64_e64 s[12:13], v[3:4]
	s_cbranch_execz .LBB0_23
; %bb.1:
	s_clause 0x1
	s_load_b128 s[4:7], s[0:1], 0x18
	s_load_b64 s[12:13], s[0:1], 0x0
	v_mul_lo_u16 v1, v1, 39
	s_mov_b32 s16, 0
	v_mov_b32_e32 v129, v3
	s_delay_alu instid0(VALU_DEP_2) | instskip(NEXT) | instid1(VALU_DEP_2)
	v_sub_nc_u16 v2, v0, v1
	v_mul_hi_u32 v107, 0xaaaaaaab, v129
	s_delay_alu instid0(VALU_DEP_2) | instskip(NEXT) | instid1(VALU_DEP_2)
	v_and_b32_e32 v8, 0xffff, v2
	v_lshrrev_b32_e32 v107, 1, v107
	s_delay_alu instid0(VALU_DEP_2) | instskip(SKIP_2) | instid1(VALU_DEP_2)
	v_lshlrev_b32_e32 v128, 4, v8
	s_wait_kmcnt 0x0
	s_load_b128 s[8:11], s[4:5], 0x0
	v_lshl_add_u32 v107, v107, 1, v107
	s_wait_kmcnt 0x0
	v_mad_co_u64_u32 v[0:1], null, s10, v3, 0
	v_mad_co_u64_u32 v[3:4], null, s8, v8, 0
	s_mul_u64 s[2:3], s[8:9], 0x4b
	s_delay_alu instid0(VALU_DEP_2)
	v_mad_co_u64_u32 v[5:6], null, s11, v129, v[1:2]
	v_mov_b32_e32 v1, v8
	s_load_b64 s[10:11], s[0:1], 0x38
	scratch_store_b64 off, v[1:2], off      ; 8-byte Folded Spill
	v_mad_co_u64_u32 v[6:7], null, s9, v8, v[4:5]
	v_mov_b32_e32 v1, v5
	s_clause 0x9
	global_load_b128 v[148:151], v128, s[12:13]
	global_load_b128 v[152:155], v128, s[12:13] offset:1200
	global_load_b128 v[108:111], v128, s[12:13] offset:2400
	;; [unrolled: 1-line block ×9, first 2 shown]
	v_mov_b32_e32 v4, v6
	v_lshlrev_b64_e32 v[0:1], 4, v[0:1]
	s_delay_alu instid0(VALU_DEP_2) | instskip(NEXT) | instid1(VALU_DEP_2)
	v_lshlrev_b64_e32 v[3:4], 4, v[3:4]
	v_add_co_u32 v0, vcc_lo, s14, v0
	s_delay_alu instid0(VALU_DEP_3) | instskip(SKIP_1) | instid1(VALU_DEP_2)
	v_add_co_ci_u32_e32 v1, vcc_lo, s15, v1, vcc_lo
	s_lshl_b64 s[14:15], s[2:3], 4
	v_add_co_u32 v0, vcc_lo, v0, v3
	s_wait_alu 0xfffd
	s_delay_alu instid0(VALU_DEP_2) | instskip(SKIP_1) | instid1(VALU_DEP_2)
	v_add_co_ci_u32_e32 v1, vcc_lo, v1, v4, vcc_lo
	s_wait_alu 0xfffe
	v_add_co_u32 v7, vcc_lo, v0, s14
	s_wait_alu 0xfffd
	s_delay_alu instid0(VALU_DEP_2) | instskip(NEXT) | instid1(VALU_DEP_2)
	v_add_co_ci_u32_e32 v8, vcc_lo, s15, v1, vcc_lo
	v_add_co_u32 v11, vcc_lo, v7, s14
	s_wait_alu 0xfffd
	s_delay_alu instid0(VALU_DEP_2)
	v_add_co_ci_u32_e32 v12, vcc_lo, s15, v8, vcc_lo
	s_clause 0x1
	global_load_b128 v[3:6], v[0:1], off
	global_load_b128 v[7:10], v[7:8], off
	v_add_co_u32 v15, vcc_lo, v11, s14
	s_wait_alu 0xfffd
	v_add_co_ci_u32_e32 v16, vcc_lo, s15, v12, vcc_lo
	s_delay_alu instid0(VALU_DEP_2) | instskip(SKIP_1) | instid1(VALU_DEP_2)
	v_add_co_u32 v0, vcc_lo, v15, s14
	s_wait_alu 0xfffd
	v_add_co_ci_u32_e32 v1, vcc_lo, s15, v16, vcc_lo
	s_clause 0x1
	global_load_b128 v[11:14], v[11:12], off
	global_load_b128 v[15:18], v[15:16], off
	v_add_co_u32 v23, vcc_lo, v0, s14
	s_wait_alu 0xfffd
	v_add_co_ci_u32_e32 v24, vcc_lo, s15, v1, vcc_lo
	global_load_b128 v[19:22], v[0:1], off
	v_add_co_u32 v0, vcc_lo, v23, s14
	s_wait_alu 0xfffd
	v_add_co_ci_u32_e32 v1, vcc_lo, s15, v24, vcc_lo
	;; [unrolled: 4-line block ×8, first 2 shown]
	s_clause 0x1
	global_load_b128 v[160:163], v128, s[12:13] offset:12000
	global_load_b128 v[156:159], v128, s[12:13] offset:13200
	global_load_b128 v[47:50], v[47:48], off
	global_load_b128 v[164:167], v128, s[12:13] offset:14400
	global_load_b128 v[51:54], v[0:1], off
	s_load_b128 s[4:7], s[6:7], 0x0
	v_cmp_gt_u16_e32 vcc_lo, 36, v2
	s_wait_loadcnt 0x19
	scratch_store_b128 off, v[148:151], off offset:164 ; 16-byte Folded Spill
	s_wait_loadcnt 0x18
	scratch_store_b128 off, v[152:155], off offset:180 ; 16-byte Folded Spill
	s_wait_loadcnt 0x15
	scratch_store_b128 off, v[116:119], off offset:68 ; 16-byte Folded Spill
	s_wait_loadcnt 0x14
	scratch_store_b128 off, v[120:123], off offset:84 ; 16-byte Folded Spill
	s_wait_loadcnt 0x13
	scratch_store_b128 off, v[124:127], off offset:100 ; 16-byte Folded Spill
	s_wait_loadcnt 0x12
	scratch_store_b128 off, v[136:139], off offset:116 ; 16-byte Folded Spill
	s_wait_loadcnt 0x11
	scratch_store_b128 off, v[140:143], off offset:132 ; 16-byte Folded Spill
	s_wait_loadcnt 0x10
	scratch_store_b128 off, v[144:147], off offset:148 ; 16-byte Folded Spill
	s_wait_loadcnt 0xf
	v_mul_f64_e32 v[55:56], v[5:6], v[150:151]
	v_mul_f64_e32 v[57:58], v[3:4], v[150:151]
	s_wait_loadcnt 0xe
	v_mul_f64_e32 v[59:60], v[9:10], v[154:155]
	v_mul_f64_e32 v[61:62], v[7:8], v[154:155]
	;; [unrolled: 3-line block ×9, first 2 shown]
	v_fma_f64 v[3:4], v[3:4], v[148:149], v[55:56]
	v_fma_f64 v[5:6], v[5:6], v[148:149], -v[57:58]
	v_fma_f64 v[7:8], v[7:8], v[152:153], v[59:60]
	s_wait_loadcnt 0x6
	v_mul_f64_e32 v[91:92], v[41:42], v[146:147]
	v_mul_f64_e32 v[93:94], v[39:40], v[146:147]
	v_fma_f64 v[9:10], v[9:10], v[152:153], -v[61:62]
	v_mov_b32_e32 v55, v129
	s_wait_loadcnt 0x4
	v_mul_f64_e32 v[95:96], v[45:46], v[162:163]
	v_mul_f64_e32 v[97:98], v[43:44], v[162:163]
	s_wait_loadcnt 0x2
	v_mul_f64_e32 v[99:100], v[49:50], v[158:159]
	v_mul_f64_e32 v[101:102], v[47:48], v[158:159]
	;; [unrolled: 3-line block ×3, first 2 shown]
	v_fma_f64 v[11:12], v[11:12], v[108:109], v[63:64]
	v_fma_f64 v[13:14], v[13:14], v[108:109], -v[65:66]
	v_fma_f64 v[15:16], v[15:16], v[112:113], v[67:68]
	v_fma_f64 v[17:18], v[17:18], v[112:113], -v[69:70]
	;; [unrolled: 2-line block ×4, first 2 shown]
	s_clause 0x1
	scratch_store_b128 off, v[164:167], off offset:228
	scratch_store_b64 off, v[55:56], off offset:1188
	v_sub_nc_u32_e32 v55, v129, v107
	v_fma_f64 v[27:28], v[27:28], v[124:125], v[79:80]
	v_fma_f64 v[29:30], v[29:30], v[124:125], -v[81:82]
	s_clause 0x1
	scratch_store_b128 off, v[160:163], off offset:212
	scratch_store_b128 off, v[156:159], off offset:196
	v_mul_u32_u24_e32 v135, 0x3cf, v55
	v_fma_f64 v[31:32], v[31:32], v[136:137], v[83:84]
	v_fma_f64 v[33:34], v[33:34], v[136:137], -v[85:86]
	s_delay_alu instid0(VALU_DEP_3)
	v_lshlrev_b32_e32 v55, 4, v135
	v_fma_f64 v[35:36], v[35:36], v[140:141], v[87:88]
	v_fma_f64 v[37:38], v[37:38], v[140:141], -v[89:90]
	s_clause 0x1
	scratch_store_b128 off, v[112:115], off offset:52
	scratch_store_b32 off, v55, off offset:16
	v_fma_f64 v[39:40], v[39:40], v[144:145], v[91:92]
	v_fma_f64 v[41:42], v[41:42], v[144:145], -v[93:94]
	v_add_nc_u32_e32 v162, v128, v55
	v_add_co_u32 v55, s2, s12, v128
	s_delay_alu instid0(VALU_DEP_1)
	v_add_co_ci_u32_e64 v56, null, s13, 0, s2
	v_fma_f64 v[43:44], v[43:44], v[160:161], v[95:96]
	v_fma_f64 v[45:46], v[45:46], v[160:161], -v[97:98]
	v_fma_f64 v[47:48], v[47:48], v[156:157], v[99:100]
	v_fma_f64 v[49:50], v[49:50], v[156:157], -v[101:102]
	;; [unrolled: 2-line block ×3, first 2 shown]
	s_clause 0x1
	scratch_store_b128 off, v[108:111], off offset:36
	scratch_store_b64 off, v[55:56], off offset:8
	ds_store_b128 v162, v[3:6]
	ds_store_b128 v162, v[7:10] offset:1200
	ds_store_b128 v162, v[11:14] offset:2400
	;; [unrolled: 1-line block ×12, first 2 shown]
	s_and_saveexec_b32 s3, vcc_lo
	s_cbranch_execz .LBB0_3
; %bb.2:
	scratch_load_b64 v[96:97], off, off offset:8 ; 8-byte Folded Reload
	v_mad_co_u64_u32 v[32:33], null, 0xffffca30, s8, v[0:1]
	s_mul_i32 s2, s9, 0xffffca30
	s_wait_loadcnt 0x0
	s_clause 0x1
	global_load_b128 v[0:3], v[96:97], off offset:624
	global_load_b128 v[4:7], v[96:97], off offset:1824
	s_wait_alu 0xfffe
	s_sub_co_i32 s2, s2, s8
	s_clause 0x1
	global_load_b128 v[8:11], v[96:97], off offset:3024
	global_load_b128 v[12:15], v[96:97], off offset:4224
	s_wait_alu 0xfffe
	v_add_nc_u32_e32 v33, s2, v33
	v_add_co_u32 v36, s2, v32, s14
	s_clause 0x3
	global_load_b128 v[16:19], v[96:97], off offset:5424
	global_load_b128 v[20:23], v[96:97], off offset:6624
	;; [unrolled: 1-line block ×4, first 2 shown]
	s_wait_alu 0xf1ff
	v_add_co_ci_u32_e64 v37, s2, s15, v33, s2
	v_add_co_u32 v40, s2, v36, s14
	global_load_b128 v[32:35], v[32:33], off
	s_wait_alu 0xf1ff
	v_add_co_ci_u32_e64 v41, s2, s15, v37, s2
	v_add_co_u32 v44, s2, v40, s14
	global_load_b128 v[36:39], v[36:37], off
	;; [unrolled: 4-line block ×5, first 2 shown]
	s_wait_alu 0xf1ff
	v_add_co_ci_u32_e64 v57, s2, s15, v53, s2
	v_add_co_u32 v60, s2, v56, s14
	s_wait_alu 0xf1ff
	s_delay_alu instid0(VALU_DEP_2) | instskip(NEXT) | instid1(VALU_DEP_2)
	v_add_co_ci_u32_e64 v61, s2, s15, v57, s2
	v_add_co_u32 v64, s2, v60, s14
	s_wait_alu 0xf1ff
	s_delay_alu instid0(VALU_DEP_2) | instskip(NEXT) | instid1(VALU_DEP_2)
	;; [unrolled: 4-line block ×3, first 2 shown]
	v_add_co_ci_u32_e64 v73, s2, s15, v65, s2
	v_add_co_u32 v80, s2, v72, s14
	global_load_b128 v[52:55], v[52:53], off
	global_load_b128 v[56:59], v[56:57], off
	;; [unrolled: 1-line block ×5, first 2 shown]
	s_wait_alu 0xf1ff
	v_add_co_ci_u32_e64 v81, s2, s15, v73, s2
	v_add_co_u32 v88, s2, v80, s14
	s_clause 0x1
	global_load_b128 v[72:75], v[96:97], off offset:10224
	global_load_b128 v[76:79], v[96:97], off offset:11424
	s_wait_alu 0xf1ff
	v_add_co_ci_u32_e64 v89, s2, s15, v81, s2
	v_add_co_u32 v100, s2, v88, s14
	global_load_b128 v[80:83], v[80:81], off
	s_wait_alu 0xf1ff
	v_add_co_ci_u32_e64 v101, s2, s15, v89, s2
	global_load_b128 v[84:87], v[96:97], off offset:12624
	global_load_b128 v[88:91], v[88:89], off
	s_clause 0x1
	global_load_b128 v[92:95], v[96:97], off offset:13824
	global_load_b128 v[96:99], v[96:97], off offset:15024
	global_load_b128 v[100:103], v[100:101], off
	s_wait_loadcnt 0x11
	v_mul_f64_e32 v[104:105], v[34:35], v[2:3]
	v_mul_f64_e32 v[2:3], v[32:33], v[2:3]
	s_wait_loadcnt 0x10
	v_mul_f64_e32 v[106:107], v[38:39], v[6:7]
	v_mul_f64_e32 v[6:7], v[36:37], v[6:7]
	;; [unrolled: 3-line block ×8, first 2 shown]
	v_fma_f64 v[30:31], v[32:33], v[0:1], v[104:105]
	v_fma_f64 v[32:33], v[34:35], v[0:1], -v[2:3]
	s_wait_loadcnt 0x7
	v_mul_f64_e32 v[122:123], v[66:67], v[74:75]
	v_mul_f64_e32 v[74:75], v[64:65], v[74:75]
	s_wait_loadcnt 0x6
	v_mul_f64_e32 v[124:125], v[70:71], v[78:79]
	v_mul_f64_e32 v[78:79], v[68:69], v[78:79]
	v_fma_f64 v[0:1], v[36:37], v[4:5], v[106:107]
	v_fma_f64 v[2:3], v[38:39], v[4:5], -v[6:7]
	s_wait_loadcnt 0x4
	v_mul_f64_e32 v[126:127], v[82:83], v[86:87]
	v_mul_f64_e32 v[86:87], v[80:81], v[86:87]
	s_wait_loadcnt 0x2
	v_mul_f64_e32 v[130:131], v[90:91], v[94:95]
	v_mul_f64_e32 v[94:95], v[88:89], v[94:95]
	;; [unrolled: 3-line block ×3, first 2 shown]
	v_fma_f64 v[4:5], v[40:41], v[8:9], v[108:109]
	v_fma_f64 v[6:7], v[42:43], v[8:9], -v[10:11]
	v_fma_f64 v[8:9], v[44:45], v[12:13], v[110:111]
	v_fma_f64 v[10:11], v[46:47], v[12:13], -v[14:15]
	;; [unrolled: 2-line block ×11, first 2 shown]
	ds_store_b128 v162, v[30:33] offset:624
	ds_store_b128 v162, v[0:3] offset:1824
	;; [unrolled: 1-line block ×13, first 2 shown]
.LBB0_3:
	s_wait_alu 0xfffe
	s_or_b32 exec_lo, exec_lo, s3
	global_wb scope:SCOPE_SE
	s_wait_storecnt_dscnt 0x0
	s_wait_kmcnt 0x0
	s_barrier_signal -1
	s_barrier_wait -1
	global_inv scope:SCOPE_SE
	ds_load_b128 v[0:3], v162
	ds_load_b128 v[60:63], v162 offset:1200
	ds_load_b128 v[64:67], v162 offset:2400
	;; [unrolled: 1-line block ×12, first 2 shown]
	scratch_load_b64 v[4:5], off, off       ; 8-byte Folded Reload
	s_load_b64 s[2:3], s[0:1], 0x8
	s_wait_loadcnt 0x0
	v_mov_b32_e32 v5, s16
                                        ; implicit-def: $vgpr12_vgpr13
                                        ; implicit-def: $vgpr40_vgpr41
                                        ; implicit-def: $vgpr44_vgpr45
                                        ; implicit-def: $vgpr52_vgpr53
                                        ; implicit-def: $vgpr48_vgpr49
                                        ; implicit-def: $vgpr36_vgpr37
                                        ; implicit-def: $vgpr32_vgpr33
                                        ; implicit-def: $vgpr28_vgpr29
                                        ; implicit-def: $vgpr24_vgpr25
                                        ; implicit-def: $vgpr20_vgpr21
                                        ; implicit-def: $vgpr16_vgpr17
                                        ; implicit-def: $vgpr8_vgpr9
	scratch_store_b64 off, v[4:5], off      ; 8-byte Folded Spill
                                        ; implicit-def: $vgpr4_vgpr5
	s_and_saveexec_b32 s0, vcc_lo
	s_cbranch_execz .LBB0_5
; %bb.4:
	ds_load_b128 v[12:15], v162 offset:624
	ds_load_b128 v[40:43], v162 offset:1824
	ds_load_b128 v[44:47], v162 offset:3024
	ds_load_b128 v[52:55], v162 offset:4224
	ds_load_b128 v[48:51], v162 offset:5424
	ds_load_b128 v[36:39], v162 offset:6624
	ds_load_b128 v[32:35], v162 offset:7824
	ds_load_b128 v[28:31], v162 offset:9024
	ds_load_b128 v[24:27], v162 offset:10224
	ds_load_b128 v[20:23], v162 offset:11424
	ds_load_b128 v[16:19], v162 offset:12624
	ds_load_b128 v[8:11], v162 offset:13824
	ds_load_b128 v[4:7], v162 offset:15024
.LBB0_5:
	s_wait_alu 0xfffe
	s_or_b32 exec_lo, exec_lo, s0
	s_wait_dscnt 0xb
	v_add_f64_e32 v[104:105], v[0:1], v[60:61]
	v_add_f64_e32 v[106:107], v[2:3], v[62:63]
	s_wait_dscnt 0x5
	v_add_f64_e64 v[108:109], v[100:101], -v[96:97]
	v_add_f64_e64 v[110:111], v[102:103], -v[98:99]
	s_mov_b32 s26, 0x4267c47c
	s_mov_b32 s28, 0x42a4c3d2
	;; [unrolled: 1-line block ×25, first 2 shown]
	s_wait_alu 0xfffe
	s_mov_b32 s40, s8
	s_mov_b32 s37, 0x3fefc445
	;; [unrolled: 1-line block ×9, first 2 shown]
	v_add_f64_e32 v[104:105], v[104:105], v[64:65]
	v_add_f64_e32 v[106:107], v[106:107], v[66:67]
	s_mov_b32 s43, 0x3fea55e2
	v_mul_f64_e32 v[165:166], s[34:35], v[110:111]
	v_mul_f64_e32 v[193:194], s[38:39], v[110:111]
	;; [unrolled: 1-line block ×3, first 2 shown]
	s_mov_b32 s42, s28
	v_mul_f64_e32 v[235:236], s[14:15], v[110:111]
	v_mul_f64_e32 v[219:220], s[42:43], v[110:111]
	;; [unrolled: 1-line block ×3, first 2 shown]
	v_lshlrev_b32_e32 v255, 4, v135
	v_add_f64_e32 v[104:105], v[104:105], v[68:69]
	v_add_f64_e32 v[106:107], v[106:107], v[70:71]
	s_delay_alu instid0(VALU_DEP_2) | instskip(NEXT) | instid1(VALU_DEP_2)
	v_add_f64_e32 v[104:105], v[104:105], v[80:81]
	v_add_f64_e32 v[106:107], v[106:107], v[82:83]
	s_delay_alu instid0(VALU_DEP_2) | instskip(NEXT) | instid1(VALU_DEP_2)
	;; [unrolled: 3-line block ×3, first 2 shown]
	v_add_f64_e32 v[104:105], v[104:105], v[100:101]
	v_add_f64_e32 v[106:107], v[106:107], v[102:103]
	;; [unrolled: 1-line block ×4, first 2 shown]
	s_delay_alu instid0(VALU_DEP_4) | instskip(NEXT) | instid1(VALU_DEP_4)
	v_add_f64_e32 v[96:97], v[104:105], v[96:97]
	v_add_f64_e32 v[98:99], v[106:107], v[98:99]
	s_wait_dscnt 0x4
	v_add_f64_e32 v[104:105], v[88:89], v[92:93]
	v_add_f64_e32 v[106:107], v[90:91], v[94:95]
	v_add_f64_e64 v[88:89], v[88:89], -v[92:93]
	v_add_f64_e64 v[90:91], v[90:91], -v[94:95]
	v_add_f64_e32 v[92:93], v[96:97], v[92:93]
	v_add_f64_e32 v[94:95], v[98:99], v[94:95]
	s_wait_dscnt 0x3
	v_add_f64_e32 v[96:97], v[80:81], v[84:85]
	v_add_f64_e32 v[98:99], v[82:83], v[86:87]
	v_add_f64_e64 v[80:81], v[80:81], -v[84:85]
	v_add_f64_e64 v[82:83], v[82:83], -v[86:87]
	v_mul_f64_e32 v[189:190], s[36:37], v[90:91]
	v_mul_f64_e32 v[191:192], s[36:37], v[88:89]
	;; [unrolled: 1-line block ×8, first 2 shown]
	v_add_f64_e32 v[84:85], v[92:93], v[84:85]
	v_add_f64_e32 v[86:87], v[94:95], v[86:87]
	s_wait_dscnt 0x2
	v_add_f64_e32 v[92:93], v[68:69], v[76:77]
	v_add_f64_e32 v[94:95], v[70:71], v[78:79]
	v_add_f64_e64 v[68:69], v[68:69], -v[76:77]
	v_add_f64_e64 v[70:71], v[70:71], -v[78:79]
	v_mul_f64_e32 v[187:188], s[40:41], v[80:81]
	v_mul_f64_e32 v[197:198], s[38:39], v[82:83]
	v_mul_f64_e32 v[199:200], s[38:39], v[80:81]
	v_mul_f64_e32 v[211:212], s[30:31], v[82:83]
	v_mul_f64_e32 v[213:214], s[30:31], v[80:81]
	v_mul_f64_e32 v[227:228], s[46:47], v[82:83]
	v_mul_f64_e32 v[229:230], s[46:47], v[80:81]
	v_add_f64_e32 v[76:77], v[84:85], v[76:77]
	v_add_f64_e32 v[78:79], v[86:87], v[78:79]
	s_wait_dscnt 0x1
	v_add_f64_e32 v[84:85], v[64:65], v[72:73]
	v_add_f64_e32 v[86:87], v[66:67], v[74:75]
	v_add_f64_e64 v[64:65], v[64:65], -v[72:73]
	v_add_f64_e64 v[66:67], v[66:67], -v[74:75]
	v_mul_f64_e32 v[185:186], s[44:45], v[70:71]
	v_mul_f64_e32 v[195:196], s[44:45], v[68:69]
	;; [unrolled: 1-line block ×5, first 2 shown]
	v_add_f64_e32 v[72:73], v[76:77], v[72:73]
	v_add_f64_e32 v[74:75], v[78:79], v[74:75]
	s_wait_dscnt 0x0
	v_add_f64_e64 v[76:77], v[62:63], -v[58:59]
	v_add_f64_e32 v[78:79], v[60:61], v[56:57]
	v_add_f64_e32 v[62:63], v[62:63], v[58:59]
	v_add_f64_e64 v[60:61], v[60:61], -v[56:57]
	v_mul_f64_e32 v[183:184], s[34:35], v[64:65]
	v_mul_f64_e32 v[181:182], s[40:41], v[66:67]
	;; [unrolled: 1-line block ×5, first 2 shown]
	v_add_f64_e32 v[136:137], v[72:73], v[56:57]
	v_add_f64_e32 v[138:139], v[74:75], v[58:59]
	v_mul_f64_e32 v[56:57], s[26:27], v[76:77]
	v_mul_f64_e32 v[58:59], s[28:29], v[76:77]
	v_mul_f64_e32 v[72:73], s[30:31], v[76:77]
	v_mul_f64_e32 v[74:75], s[14:15], v[76:77]
	v_mul_f64_e32 v[112:113], s[8:9], v[76:77]
	v_mul_f64_e32 v[76:77], s[34:35], v[76:77]
	v_mul_f64_e32 v[126:127], s[28:29], v[60:61]
	v_mul_f64_e32 v[130:131], s[30:31], v[60:61]
	v_mul_f64_e32 v[140:141], s[14:15], v[60:61]
	v_mul_f64_e32 v[142:143], s[8:9], v[60:61]
	v_fma_f64 v[114:115], v[78:79], s[0:1], -v[56:57]
	v_fma_f64 v[56:57], v[78:79], s[0:1], v[56:57]
	v_fma_f64 v[116:117], v[78:79], s[18:19], -v[58:59]
	v_fma_f64 v[58:59], v[78:79], s[18:19], v[58:59]
	;; [unrolled: 2-line block ×6, first 2 shown]
	v_mul_f64_e32 v[78:79], s[26:27], v[60:61]
	v_mul_f64_e32 v[60:61], s[34:35], v[60:61]
	v_fma_f64 v[146:147], v[62:63], s[18:19], v[126:127]
	v_fma_f64 v[126:127], v[62:63], s[18:19], -v[126:127]
	v_fma_f64 v[148:149], v[62:63], s[24:25], v[130:131]
	v_fma_f64 v[130:131], v[62:63], s[24:25], -v[130:131]
	;; [unrolled: 2-line block ×4, first 2 shown]
	v_add_f64_e32 v[56:57], v[0:1], v[56:57]
	v_add_f64_e32 v[116:117], v[0:1], v[116:117]
	;; [unrolled: 1-line block ×10, first 2 shown]
	v_fma_f64 v[144:145], v[62:63], s[0:1], v[78:79]
	v_fma_f64 v[78:79], v[62:63], s[0:1], -v[78:79]
	v_fma_f64 v[154:155], v[62:63], s[16:17], v[60:61]
	v_fma_f64 v[60:61], v[62:63], s[16:17], -v[60:61]
	v_add_f64_e32 v[62:63], v[0:1], v[114:115]
	v_add_f64_e32 v[156:157], v[2:3], v[146:147]
	;; [unrolled: 1-line block ×10, first 2 shown]
	v_mul_f64_e32 v[146:147], s[30:31], v[68:69]
	v_mul_f64_e32 v[148:149], s[14:15], v[82:83]
	;; [unrolled: 1-line block ×6, first 2 shown]
	v_add_f64_e32 v[114:115], v[2:3], v[144:145]
	v_add_f64_e32 v[78:79], v[2:3], v[78:79]
	;; [unrolled: 1-line block ×4, first 2 shown]
	v_mul_f64_e32 v[60:61], s[28:29], v[66:67]
	v_mul_f64_e32 v[144:145], s[30:31], v[70:71]
	;; [unrolled: 1-line block ×4, first 2 shown]
	s_delay_alu instid0(VALU_DEP_4) | instskip(SKIP_1) | instid1(VALU_DEP_2)
	v_fma_f64 v[76:77], v[84:85], s[18:19], -v[60:61]
	v_fma_f64 v[60:61], v[84:85], s[18:19], v[60:61]
	v_add_f64_e32 v[62:63], v[76:77], v[62:63]
	v_mul_f64_e32 v[76:77], s[28:29], v[64:65]
	s_delay_alu instid0(VALU_DEP_3) | instskip(NEXT) | instid1(VALU_DEP_2)
	v_add_f64_e32 v[56:57], v[60:61], v[56:57]
	v_fma_f64 v[140:141], v[86:87], s[18:19], v[76:77]
	v_fma_f64 v[60:61], v[86:87], s[18:19], -v[76:77]
	v_fma_f64 v[76:77], v[92:93], s[24:25], v[144:145]
	s_delay_alu instid0(VALU_DEP_3) | instskip(SKIP_1) | instid1(VALU_DEP_4)
	v_add_f64_e32 v[114:115], v[140:141], v[114:115]
	v_fma_f64 v[140:141], v[92:93], s[24:25], -v[144:145]
	v_add_f64_e32 v[60:61], v[60:61], v[78:79]
	s_delay_alu instid0(VALU_DEP_4) | instskip(SKIP_4) | instid1(VALU_DEP_4)
	v_add_f64_e32 v[56:57], v[76:77], v[56:57]
	v_fma_f64 v[76:77], v[94:95], s[24:25], -v[146:147]
	v_mul_f64_e32 v[78:79], s[34:35], v[70:71]
	v_add_f64_e32 v[62:63], v[140:141], v[62:63]
	v_fma_f64 v[140:141], v[94:95], s[24:25], v[146:147]
	v_add_f64_e32 v[60:61], v[76:77], v[60:61]
	v_fma_f64 v[76:77], v[96:97], s[22:23], v[148:149]
	s_delay_alu instid0(VALU_DEP_3) | instskip(SKIP_1) | instid1(VALU_DEP_3)
	v_add_f64_e32 v[114:115], v[140:141], v[114:115]
	v_fma_f64 v[140:141], v[96:97], s[22:23], -v[148:149]
	v_add_f64_e32 v[56:57], v[76:77], v[56:57]
	v_fma_f64 v[76:77], v[98:99], s[22:23], -v[150:151]
	s_delay_alu instid0(VALU_DEP_3) | instskip(SKIP_1) | instid1(VALU_DEP_3)
	v_add_f64_e32 v[62:63], v[140:141], v[62:63]
	v_fma_f64 v[140:141], v[98:99], s[22:23], v[150:151]
	v_add_f64_e32 v[60:61], v[76:77], v[60:61]
	v_fma_f64 v[76:77], v[104:105], s[20:21], v[152:153]
	s_delay_alu instid0(VALU_DEP_3) | instskip(SKIP_1) | instid1(VALU_DEP_3)
	v_add_f64_e32 v[114:115], v[140:141], v[114:115]
	v_fma_f64 v[140:141], v[104:105], s[20:21], -v[152:153]
	v_add_f64_e32 v[56:57], v[76:77], v[56:57]
	v_fma_f64 v[76:77], v[106:107], s[20:21], -v[154:155]
	s_delay_alu instid0(VALU_DEP_3) | instskip(SKIP_2) | instid1(VALU_DEP_4)
	v_add_f64_e32 v[62:63], v[140:141], v[62:63]
	v_fma_f64 v[140:141], v[106:107], s[20:21], v[154:155]
	v_fma_f64 v[154:155], v[92:93], s[22:23], -v[185:186]
	v_add_f64_e32 v[60:61], v[76:77], v[60:61]
	v_fma_f64 v[76:77], v[100:101], s[16:17], v[165:166]
	s_delay_alu instid0(VALU_DEP_4) | instskip(SKIP_1) | instid1(VALU_DEP_3)
	v_add_f64_e32 v[114:115], v[140:141], v[114:115]
	v_fma_f64 v[140:141], v[100:101], s[16:17], -v[165:166]
	v_add_f64_e32 v[144:145], v[76:77], v[56:57]
	v_mul_f64_e32 v[56:57], s[14:15], v[66:67]
	s_delay_alu instid0(VALU_DEP_3) | instskip(SKIP_1) | instid1(VALU_DEP_1)
	v_add_f64_e32 v[140:141], v[140:141], v[62:63]
	v_mul_f64_e32 v[62:63], s[34:35], v[108:109]
	v_fma_f64 v[142:143], v[102:103], s[16:17], v[62:63]
	v_fma_f64 v[62:63], v[102:103], s[16:17], -v[62:63]
	s_delay_alu instid0(VALU_DEP_2) | instskip(NEXT) | instid1(VALU_DEP_2)
	v_add_f64_e32 v[142:143], v[142:143], v[114:115]
	v_add_f64_e32 v[146:147], v[62:63], v[60:61]
	v_fma_f64 v[60:61], v[84:85], s[22:23], -v[56:57]
	v_mul_f64_e32 v[62:63], s[14:15], v[64:65]
	v_fma_f64 v[114:115], v[92:93], s[16:17], -v[78:79]
	v_mul_f64_e32 v[64:65], s[38:39], v[64:65]
	s_delay_alu instid0(VALU_DEP_4) | instskip(NEXT) | instid1(VALU_DEP_4)
	v_add_f64_e32 v[60:61], v[60:61], v[116:117]
	v_fma_f64 v[76:77], v[86:87], s[22:23], v[62:63]
	s_delay_alu instid0(VALU_DEP_2) | instskip(SKIP_1) | instid1(VALU_DEP_3)
	v_add_f64_e32 v[60:61], v[114:115], v[60:61]
	v_mul_f64_e32 v[114:115], s[34:35], v[68:69]
	v_add_f64_e32 v[76:77], v[76:77], v[156:157]
	v_mul_f64_e32 v[68:69], s[8:9], v[68:69]
	s_delay_alu instid0(VALU_DEP_3) | instskip(NEXT) | instid1(VALU_DEP_1)
	v_fma_f64 v[116:117], v[94:95], s[16:17], v[114:115]
	v_add_f64_e32 v[76:77], v[116:117], v[76:77]
	v_mul_f64_e32 v[116:117], s[40:41], v[82:83]
	v_mul_f64_e32 v[82:83], s[42:43], v[82:83]
	s_delay_alu instid0(VALU_DEP_2) | instskip(NEXT) | instid1(VALU_DEP_1)
	v_fma_f64 v[148:149], v[96:97], s[20:21], -v[116:117]
	v_add_f64_e32 v[60:61], v[148:149], v[60:61]
	v_fma_f64 v[148:149], v[98:99], s[20:21], v[187:188]
	s_delay_alu instid0(VALU_DEP_1) | instskip(SKIP_1) | instid1(VALU_DEP_1)
	v_add_f64_e32 v[76:77], v[148:149], v[76:77]
	v_fma_f64 v[148:149], v[104:105], s[24:25], -v[189:190]
	v_add_f64_e32 v[60:61], v[148:149], v[60:61]
	v_fma_f64 v[148:149], v[106:107], s[24:25], v[191:192]
	s_delay_alu instid0(VALU_DEP_1) | instskip(SKIP_1) | instid1(VALU_DEP_1)
	v_add_f64_e32 v[76:77], v[148:149], v[76:77]
	v_fma_f64 v[148:149], v[100:101], s[0:1], -v[193:194]
	v_add_f64_e32 v[148:149], v[148:149], v[60:61]
	v_mul_f64_e32 v[60:61], s[38:39], v[108:109]
	s_delay_alu instid0(VALU_DEP_1) | instskip(NEXT) | instid1(VALU_DEP_1)
	v_fma_f64 v[150:151], v[102:103], s[0:1], v[60:61]
	v_add_f64_e32 v[150:151], v[150:151], v[76:77]
	v_mul_f64_e32 v[76:77], s[34:35], v[66:67]
	v_mul_f64_e32 v[66:67], s[38:39], v[66:67]
	s_delay_alu instid0(VALU_DEP_2) | instskip(NEXT) | instid1(VALU_DEP_1)
	v_fma_f64 v[152:153], v[84:85], s[16:17], -v[76:77]
	v_add_f64_e32 v[118:119], v[152:153], v[118:119]
	v_fma_f64 v[152:153], v[86:87], s[16:17], v[183:184]
	s_delay_alu instid0(VALU_DEP_2) | instskip(NEXT) | instid1(VALU_DEP_2)
	v_add_f64_e32 v[118:119], v[154:155], v[118:119]
	v_add_f64_e32 v[152:153], v[152:153], v[158:159]
	v_fma_f64 v[154:155], v[94:95], s[22:23], v[195:196]
	s_delay_alu instid0(VALU_DEP_1) | instskip(SKIP_1) | instid1(VALU_DEP_1)
	v_add_f64_e32 v[152:153], v[154:155], v[152:153]
	v_fma_f64 v[154:155], v[96:97], s[0:1], -v[197:198]
	v_add_f64_e32 v[118:119], v[154:155], v[118:119]
	v_fma_f64 v[154:155], v[98:99], s[0:1], v[199:200]
	s_delay_alu instid0(VALU_DEP_1) | instskip(SKIP_1) | instid1(VALU_DEP_1)
	v_add_f64_e32 v[152:153], v[154:155], v[152:153]
	v_fma_f64 v[154:155], v[104:105], s[18:19], -v[201:202]
	;; [unrolled: 5-line block ×3, first 2 shown]
	v_add_f64_e32 v[152:153], v[152:153], v[118:119]
	v_mul_f64_e32 v[118:119], s[8:9], v[108:109]
	s_delay_alu instid0(VALU_DEP_1) | instskip(NEXT) | instid1(VALU_DEP_1)
	v_fma_f64 v[156:157], v[102:103], s[20:21], v[118:119]
	v_add_f64_e32 v[154:155], v[156:157], v[154:155]
	v_fma_f64 v[156:157], v[84:85], s[20:21], -v[181:182]
	s_delay_alu instid0(VALU_DEP_1) | instskip(SKIP_1) | instid1(VALU_DEP_1)
	v_add_f64_e32 v[120:121], v[156:157], v[120:121]
	v_fma_f64 v[156:157], v[86:87], s[20:21], v[207:208]
	v_add_f64_e32 v[156:157], v[156:157], v[160:161]
	v_mul_f64_e32 v[160:161], s[38:39], v[70:71]
	v_mul_f64_e32 v[70:71], s[8:9], v[70:71]
	s_delay_alu instid0(VALU_DEP_2) | instskip(NEXT) | instid1(VALU_DEP_1)
	v_fma_f64 v[158:159], v[92:93], s[0:1], -v[160:161]
	v_add_f64_e32 v[120:121], v[158:159], v[120:121]
	v_fma_f64 v[158:159], v[94:95], s[0:1], v[209:210]
	s_delay_alu instid0(VALU_DEP_1) | instskip(SKIP_1) | instid1(VALU_DEP_1)
	v_add_f64_e32 v[156:157], v[158:159], v[156:157]
	v_fma_f64 v[158:159], v[96:97], s[24:25], -v[211:212]
	v_add_f64_e32 v[120:121], v[158:159], v[120:121]
	v_fma_f64 v[158:159], v[98:99], s[24:25], v[213:214]
	s_delay_alu instid0(VALU_DEP_1) | instskip(SKIP_1) | instid1(VALU_DEP_1)
	v_add_f64_e32 v[156:157], v[158:159], v[156:157]
	;; [unrolled: 5-line block ×3, first 2 shown]
	v_fma_f64 v[156:157], v[100:101], s[18:19], -v[219:220]
	v_add_f64_e32 v[156:157], v[156:157], v[120:121]
	v_mul_f64_e32 v[120:121], s[42:43], v[108:109]
	s_delay_alu instid0(VALU_DEP_1) | instskip(NEXT) | instid1(VALU_DEP_1)
	v_fma_f64 v[165:166], v[102:103], s[18:19], v[120:121]
	v_add_f64_e32 v[158:159], v[165:166], v[158:159]
	v_fma_f64 v[165:166], v[84:85], s[24:25], -v[177:178]
	s_delay_alu instid0(VALU_DEP_1) | instskip(SKIP_1) | instid1(VALU_DEP_1)
	v_add_f64_e32 v[122:123], v[165:166], v[122:123]
	v_fma_f64 v[165:166], v[86:87], s[24:25], v[221:222]
	v_add_f64_e32 v[163:164], v[165:166], v[163:164]
	v_fma_f64 v[165:166], v[92:93], s[18:19], -v[223:224]
	s_delay_alu instid0(VALU_DEP_1) | instskip(SKIP_1) | instid1(VALU_DEP_1)
	v_add_f64_e32 v[122:123], v[165:166], v[122:123]
	;; [unrolled: 5-line block ×4, first 2 shown]
	v_fma_f64 v[165:166], v[106:107], s[0:1], v[233:234]
	v_add_f64_e32 v[165:166], v[165:166], v[163:164]
	v_fma_f64 v[163:164], v[100:101], s[22:23], -v[235:236]
	s_delay_alu instid0(VALU_DEP_1) | instskip(SKIP_2) | instid1(VALU_DEP_2)
	v_add_f64_e32 v[163:164], v[163:164], v[122:123]
	v_mul_f64_e32 v[122:123], s[14:15], v[108:109]
	v_mul_f64_e32 v[108:109], s[36:37], v[108:109]
	v_fma_f64 v[169:170], v[102:103], s[22:23], v[122:123]
	s_delay_alu instid0(VALU_DEP_1) | instskip(SKIP_2) | instid1(VALU_DEP_2)
	v_add_f64_e32 v[165:166], v[169:170], v[165:166]
	v_fma_f64 v[169:170], v[84:85], s[0:1], -v[66:67]
	v_fma_f64 v[66:67], v[84:85], s[0:1], v[66:67]
	v_add_f64_e32 v[124:125], v[169:170], v[124:125]
	v_fma_f64 v[169:170], v[86:87], s[0:1], v[64:65]
	v_fma_f64 v[64:65], v[86:87], s[0:1], -v[64:65]
	s_delay_alu instid0(VALU_DEP_4) | instskip(SKIP_1) | instid1(VALU_DEP_4)
	v_add_f64_e32 v[0:1], v[66:67], v[0:1]
	v_fma_f64 v[66:67], v[102:103], s[24:25], -v[108:109]
	v_add_f64_e32 v[167:168], v[169:170], v[167:168]
	s_delay_alu instid0(VALU_DEP_4) | instskip(SKIP_2) | instid1(VALU_DEP_2)
	v_add_f64_e32 v[2:3], v[64:65], v[2:3]
	v_fma_f64 v[64:65], v[92:93], s[20:21], v[70:71]
	v_fma_f64 v[169:170], v[92:93], s[20:21], -v[70:71]
	v_add_f64_e32 v[0:1], v[64:65], v[0:1]
	v_fma_f64 v[64:65], v[94:95], s[20:21], -v[68:69]
	s_delay_alu instid0(VALU_DEP_3) | instskip(SKIP_2) | instid1(VALU_DEP_4)
	v_add_f64_e32 v[124:125], v[169:170], v[124:125]
	v_fma_f64 v[169:170], v[94:95], s[20:21], v[68:69]
	v_add_f64_e32 v[68:69], v[36:37], v[24:25]
	v_add_f64_e32 v[2:3], v[64:65], v[2:3]
	v_fma_f64 v[64:65], v[96:97], s[18:19], v[82:83]
	s_delay_alu instid0(VALU_DEP_4) | instskip(SKIP_1) | instid1(VALU_DEP_3)
	v_add_f64_e32 v[167:168], v[169:170], v[167:168]
	v_fma_f64 v[169:170], v[96:97], s[18:19], -v[82:83]
	v_add_f64_e32 v[0:1], v[64:65], v[0:1]
	v_fma_f64 v[64:65], v[98:99], s[18:19], -v[80:81]
	s_delay_alu instid0(VALU_DEP_3) | instskip(SKIP_2) | instid1(VALU_DEP_4)
	v_add_f64_e32 v[124:125], v[169:170], v[124:125]
	v_fma_f64 v[169:170], v[98:99], s[18:19], v[80:81]
	v_add_f64_e32 v[80:81], v[48:49], v[20:21]
	v_add_f64_e32 v[2:3], v[64:65], v[2:3]
	v_fma_f64 v[64:65], v[104:105], s[22:23], v[90:91]
	s_delay_alu instid0(VALU_DEP_4) | instskip(SKIP_2) | instid1(VALU_DEP_4)
	v_add_f64_e32 v[167:168], v[169:170], v[167:168]
	v_fma_f64 v[169:170], v[104:105], s[22:23], -v[90:91]
	v_add_f64_e64 v[90:91], v[46:47], -v[10:11]
	v_add_f64_e32 v[0:1], v[64:65], v[0:1]
	v_fma_f64 v[64:65], v[106:107], s[22:23], -v[88:89]
	s_delay_alu instid0(VALU_DEP_4) | instskip(SKIP_2) | instid1(VALU_DEP_4)
	v_add_f64_e32 v[124:125], v[169:170], v[124:125]
	v_fma_f64 v[169:170], v[106:107], s[22:23], v[88:89]
	v_add_f64_e64 v[88:89], v[50:51], -v[22:23]
	v_add_f64_e32 v[2:3], v[64:65], v[2:3]
	v_fma_f64 v[64:65], v[100:101], s[24:25], v[110:111]
	s_delay_alu instid0(VALU_DEP_4)
	v_add_f64_e32 v[169:170], v[169:170], v[167:168]
	v_fma_f64 v[167:168], v[100:101], s[24:25], -v[110:111]
	v_add_f64_e32 v[110:111], v[54:55], v[18:19]
	v_mul_f64_e32 v[82:83], s[14:15], v[88:89]
	v_add_f64_e32 v[173:174], v[66:67], v[2:3]
	v_add_f64_e32 v[171:172], v[64:65], v[0:1]
	v_fma_f64 v[0:1], v[84:85], s[24:25], v[177:178]
	v_fma_f64 v[2:3], v[86:87], s[24:25], -v[221:222]
	v_fma_f64 v[64:65], v[92:93], s[18:19], v[223:224]
	v_fma_f64 v[66:67], v[102:103], s[22:23], -v[122:123]
	v_add_f64_e32 v[167:168], v[167:168], v[124:125]
	v_fma_f64 v[124:125], v[102:103], s[24:25], v[108:109]
	v_add_f64_e32 v[122:123], v[42:43], v[6:7]
	v_add_f64_e64 v[108:109], v[44:45], -v[8:9]
	v_add_f64_e32 v[0:1], v[0:1], v[112:113]
	v_add_f64_e32 v[2:3], v[2:3], v[175:176]
	;; [unrolled: 1-line block ×3, first 2 shown]
	v_add_f64_e64 v[124:125], v[40:41], -v[4:5]
	s_delay_alu instid0(VALU_DEP_4) | instskip(SKIP_1) | instid1(VALU_DEP_1)
	v_add_f64_e32 v[0:1], v[64:65], v[0:1]
	v_fma_f64 v[64:65], v[94:95], s[18:19], -v[225:226]
	v_add_f64_e32 v[2:3], v[64:65], v[2:3]
	v_fma_f64 v[64:65], v[96:97], s[16:17], v[227:228]
	s_delay_alu instid0(VALU_DEP_1) | instskip(SKIP_1) | instid1(VALU_DEP_1)
	v_add_f64_e32 v[0:1], v[64:65], v[0:1]
	v_fma_f64 v[64:65], v[98:99], s[16:17], -v[229:230]
	v_add_f64_e32 v[2:3], v[64:65], v[2:3]
	v_fma_f64 v[64:65], v[104:105], s[0:1], v[231:232]
	s_delay_alu instid0(VALU_DEP_1) | instskip(SKIP_1) | instid1(VALU_DEP_1)
	v_add_f64_e32 v[0:1], v[64:65], v[0:1]
	v_fma_f64 v[64:65], v[106:107], s[0:1], -v[233:234]
	v_add_f64_e32 v[2:3], v[64:65], v[2:3]
	v_fma_f64 v[64:65], v[100:101], s[22:23], v[235:236]
	s_delay_alu instid0(VALU_DEP_2) | instskip(NEXT) | instid1(VALU_DEP_2)
	v_add_f64_e32 v[177:178], v[66:67], v[2:3]
	v_add_f64_e32 v[175:176], v[64:65], v[0:1]
	v_fma_f64 v[0:1], v[84:85], s[20:21], v[181:182]
	v_fma_f64 v[2:3], v[86:87], s[20:21], -v[207:208]
	v_fma_f64 v[64:65], v[92:93], s[0:1], v[160:161]
	v_fma_f64 v[66:67], v[102:103], s[18:19], -v[120:121]
	v_add_f64_e64 v[120:121], v[42:43], -v[6:7]
	v_add_f64_e32 v[0:1], v[0:1], v[74:75]
	v_add_f64_e32 v[2:3], v[2:3], v[179:180]
	;; [unrolled: 1-line block ×3, first 2 shown]
	s_delay_alu instid0(VALU_DEP_3) | instskip(SKIP_1) | instid1(VALU_DEP_1)
	v_add_f64_e32 v[0:1], v[64:65], v[0:1]
	v_fma_f64 v[64:65], v[94:95], s[0:1], -v[209:210]
	v_add_f64_e32 v[2:3], v[64:65], v[2:3]
	v_fma_f64 v[64:65], v[96:97], s[24:25], v[211:212]
	s_delay_alu instid0(VALU_DEP_1) | instskip(SKIP_1) | instid1(VALU_DEP_1)
	v_add_f64_e32 v[0:1], v[64:65], v[0:1]
	v_fma_f64 v[64:65], v[98:99], s[24:25], -v[213:214]
	v_add_f64_e32 v[2:3], v[64:65], v[2:3]
	v_fma_f64 v[64:65], v[104:105], s[16:17], v[215:216]
	s_delay_alu instid0(VALU_DEP_1) | instskip(SKIP_1) | instid1(VALU_DEP_1)
	v_add_f64_e32 v[0:1], v[64:65], v[0:1]
	v_fma_f64 v[64:65], v[106:107], s[16:17], -v[217:218]
	v_add_f64_e32 v[2:3], v[64:65], v[2:3]
	v_fma_f64 v[64:65], v[100:101], s[18:19], v[219:220]
	s_delay_alu instid0(VALU_DEP_2) | instskip(NEXT) | instid1(VALU_DEP_2)
	v_add_f64_e32 v[181:182], v[66:67], v[2:3]
	v_add_f64_e32 v[179:180], v[64:65], v[0:1]
	v_fma_f64 v[0:1], v[84:85], s[16:17], v[76:77]
	v_fma_f64 v[2:3], v[86:87], s[16:17], -v[183:184]
	v_fma_f64 v[64:65], v[92:93], s[22:23], v[185:186]
	v_fma_f64 v[66:67], v[102:103], s[20:21], -v[118:119]
	v_mul_f64_e32 v[118:119], s[26:27], v[120:121]
	v_add_f64_e64 v[76:77], v[36:37], -v[24:25]
	v_add_f64_e32 v[0:1], v[0:1], v[72:73]
	v_add_f64_e32 v[2:3], v[2:3], v[130:131]
	v_add_f64_e64 v[72:73], v[38:39], -v[26:27]
	s_delay_alu instid0(VALU_DEP_3) | instskip(SKIP_1) | instid1(VALU_DEP_3)
	v_add_f64_e32 v[0:1], v[64:65], v[0:1]
	v_fma_f64 v[64:65], v[94:95], s[22:23], -v[195:196]
	v_mul_f64_e32 v[70:71], s[8:9], v[72:73]
	s_delay_alu instid0(VALU_DEP_2) | instskip(SKIP_1) | instid1(VALU_DEP_1)
	v_add_f64_e32 v[2:3], v[64:65], v[2:3]
	v_fma_f64 v[64:65], v[96:97], s[0:1], v[197:198]
	v_add_f64_e32 v[0:1], v[64:65], v[0:1]
	v_fma_f64 v[64:65], v[98:99], s[0:1], -v[199:200]
	s_delay_alu instid0(VALU_DEP_1) | instskip(SKIP_1) | instid1(VALU_DEP_1)
	v_add_f64_e32 v[2:3], v[64:65], v[2:3]
	v_fma_f64 v[64:65], v[104:105], s[18:19], v[201:202]
	v_add_f64_e32 v[0:1], v[64:65], v[0:1]
	v_fma_f64 v[64:65], v[106:107], s[18:19], -v[203:204]
	s_delay_alu instid0(VALU_DEP_1) | instskip(SKIP_1) | instid1(VALU_DEP_2)
	v_add_f64_e32 v[2:3], v[64:65], v[2:3]
	v_fma_f64 v[64:65], v[100:101], s[20:21], v[205:206]
	v_add_f64_e32 v[185:186], v[66:67], v[2:3]
	s_delay_alu instid0(VALU_DEP_2)
	v_add_f64_e32 v[183:184], v[64:65], v[0:1]
	v_fma_f64 v[0:1], v[84:85], s[22:23], v[56:57]
	v_fma_f64 v[2:3], v[86:87], s[22:23], -v[62:63]
	v_fma_f64 v[56:57], v[92:93], s[16:17], v[78:79]
	v_fma_f64 v[62:63], v[94:95], s[16:17], -v[114:115]
	v_fma_f64 v[64:65], v[98:99], s[20:21], -v[187:188]
	v_add_f64_e32 v[84:85], v[44:45], v[8:9]
	v_mul_f64_e32 v[86:87], s[28:29], v[90:91]
	v_add_f64_e32 v[98:99], v[52:53], v[16:17]
	v_add_f64_e64 v[114:115], v[52:53], -v[16:17]
	v_add_f64_e64 v[94:95], v[48:49], -v[20:21]
	v_add_f64_e32 v[92:93], v[50:51], v[22:23]
	v_mul_f64_e32 v[78:79], s[8:9], v[76:77]
	v_add_f64_e64 v[66:67], v[32:33], -v[28:29]
	v_add_f64_e32 v[0:1], v[0:1], v[58:59]
	v_add_f64_e32 v[2:3], v[2:3], v[126:127]
	v_fma_f64 v[58:59], v[96:97], s[20:21], v[116:117]
	v_add_f64_e32 v[116:117], v[40:41], v[4:5]
	v_mul_f64_e32 v[126:127], s[26:27], v[124:125]
	v_mul_f64_e32 v[112:113], s[30:31], v[114:115]
	;; [unrolled: 1-line block ×4, first 2 shown]
	v_add_f64_e32 v[0:1], v[56:57], v[0:1]
	v_add_f64_e32 v[2:3], v[62:63], v[2:3]
	v_fma_f64 v[56:57], v[104:105], s[24:25], v[189:190]
	v_add_f64_e32 v[104:105], v[46:47], v[10:11]
	s_delay_alu instid0(VALU_DEP_4) | instskip(NEXT) | instid1(VALU_DEP_4)
	v_add_f64_e32 v[0:1], v[58:59], v[0:1]
	v_add_f64_e32 v[2:3], v[64:65], v[2:3]
	v_fma_f64 v[58:59], v[106:107], s[24:25], -v[191:192]
	v_mul_f64_e32 v[106:107], s[28:29], v[108:109]
	v_add_f64_e32 v[64:65], v[34:35], v[30:31]
	v_add_f64_e32 v[0:1], v[56:57], v[0:1]
	v_fma_f64 v[56:57], v[100:101], s[0:1], v[193:194]
	v_add_f64_e32 v[2:3], v[58:59], v[2:3]
	v_fma_f64 v[58:59], v[102:103], s[0:1], -v[60:61]
	v_add_f64_e64 v[102:103], v[54:55], -v[18:19]
	v_add_f64_e64 v[60:61], v[34:35], -v[30:31]
	v_fma_f64 v[130:131], v[64:65], s[16:17], -v[132:133]
	v_add_f64_e32 v[187:188], v[56:57], v[0:1]
	v_fma_f64 v[0:1], v[116:117], s[0:1], v[118:119]
	v_add_f64_e32 v[189:190], v[58:59], v[2:3]
	v_fma_f64 v[2:3], v[84:85], s[18:19], v[86:87]
	v_fma_f64 v[56:57], v[104:105], s[18:19], -v[106:107]
	v_mul_f64_e32 v[100:101], s[30:31], v[102:103]
	v_mul_f64_e32 v[160:161], s[34:35], v[60:61]
	v_add_f64_e32 v[0:1], v[12:13], v[0:1]
	s_delay_alu instid0(VALU_DEP_1) | instskip(SKIP_1) | instid1(VALU_DEP_1)
	v_add_f64_e32 v[0:1], v[2:3], v[0:1]
	v_fma_f64 v[2:3], v[122:123], s[0:1], -v[126:127]
	v_add_f64_e32 v[2:3], v[14:15], v[2:3]
	s_delay_alu instid0(VALU_DEP_1) | instskip(SKIP_1) | instid1(VALU_DEP_1)
	v_add_f64_e32 v[2:3], v[56:57], v[2:3]
	v_fma_f64 v[56:57], v[98:99], s[24:25], v[100:101]
	v_add_f64_e32 v[0:1], v[56:57], v[0:1]
	v_fma_f64 v[56:57], v[110:111], s[24:25], -v[112:113]
	s_delay_alu instid0(VALU_DEP_1) | instskip(SKIP_1) | instid1(VALU_DEP_1)
	v_add_f64_e32 v[2:3], v[56:57], v[2:3]
	v_fma_f64 v[56:57], v[80:81], s[22:23], v[82:83]
	v_add_f64_e32 v[0:1], v[56:57], v[0:1]
	v_fma_f64 v[56:57], v[92:93], s[22:23], -v[96:97]
	;; [unrolled: 5-line block ×3, first 2 shown]
	s_delay_alu instid0(VALU_DEP_1) | instskip(SKIP_1) | instid1(VALU_DEP_2)
	v_add_f64_e32 v[2:3], v[56:57], v[2:3]
	v_add_f64_e32 v[56:57], v[32:33], v[28:29]
	;; [unrolled: 1-line block ×3, first 2 shown]
	s_delay_alu instid0(VALU_DEP_2) | instskip(NEXT) | instid1(VALU_DEP_1)
	v_fma_f64 v[62:63], v[56:57], s[16:17], v[160:161]
	v_add_f64_e32 v[191:192], v[62:63], v[0:1]
	scratch_load_b64 v[62:63], off, off     ; 8-byte Folded Reload
	global_wb scope:SCOPE_SE
	s_wait_loadcnt 0x0
	s_wait_storecnt 0x0
	s_wait_kmcnt 0x0
	s_barrier_signal -1
	s_barrier_wait -1
	global_inv scope:SCOPE_SE
	v_mul_lo_u16 v58, v62, 13
	v_add_co_u32 v129, s33, v62, 39
	s_delay_alu instid0(VALU_DEP_1) | instskip(NEXT) | instid1(VALU_DEP_3)
	v_add_co_ci_u32_e64 v130, null, 0, 0, s33
	v_and_b32_e32 v58, 0xffff, v58
	s_delay_alu instid0(VALU_DEP_1) | instskip(NEXT) | instid1(VALU_DEP_4)
	v_lshl_add_u32 v134, v58, 4, v255
	v_mul_u32_u24_e32 v58, 13, v129
	ds_store_b128 v134, v[136:139]
	ds_store_b128 v134, v[140:143] offset:16
	ds_store_b128 v134, v[148:151] offset:32
	;; [unrolled: 1-line block ×12, first 2 shown]
	scratch_store_b32 off, v58, off offset:1196 ; 4-byte Folded Spill
	s_and_saveexec_b32 s33, vcc_lo
	s_cbranch_execz .LBB0_7
; %bb.6:
	v_add_f64_e32 v[42:43], v[14:15], v[42:43]
	v_add_f64_e32 v[40:41], v[12:13], v[40:41]
	v_mul_f64_e32 v[140:141], s[22:23], v[110:111]
	v_mul_f64_e32 v[144:145], s[16:17], v[110:111]
	v_mul_f64_e32 v[150:151], s[24:25], v[104:105]
	v_mul_f64_e32 v[154:155], s[20:21], v[104:105]
	v_mul_f64_e32 v[158:159], s[16:17], v[104:105]
	v_mul_f64_e32 v[163:164], s[22:23], v[104:105]
	v_dual_mov_b32 v0, v128 :: v_dual_mov_b32 v131, v135
	v_dual_mov_b32 v128, v255 :: v_dual_mov_b32 v255, v134
	;; [unrolled: 1-line block ×3, first 2 shown]
	v_mul_f64_e32 v[167:168], s[44:45], v[102:103]
	v_mul_f64_e32 v[179:180], s[36:37], v[90:91]
	;; [unrolled: 1-line block ×16, first 2 shown]
	v_add_f64_e32 v[42:43], v[42:43], v[46:47]
	v_add_f64_e32 v[40:41], v[40:41], v[44:45]
	v_mul_f64_e32 v[44:45], s[0:1], v[122:123]
	v_mul_f64_e32 v[46:47], s[34:35], v[120:121]
	v_fma_f64 v[142:143], v[114:115], s[14:15], v[140:141]
	v_fma_f64 v[140:141], v[114:115], s[44:45], v[140:141]
	;; [unrolled: 1-line block ×11, first 2 shown]
	v_fma_f64 v[167:168], v[98:99], s[22:23], -v[167:168]
	v_fma_f64 v[187:188], v[84:85], s[24:25], v[179:180]
	v_fma_f64 v[179:180], v[84:85], s[24:25], -v[179:180]
	v_fma_f64 v[189:190], v[84:85], s[20:21], v[181:182]
	v_fma_f64 v[181:182], v[84:85], s[20:21], -v[181:182]
	v_fma_f64 v[199:200], v[94:95], s[34:35], v[197:198]
	v_fma_f64 v[197:198], v[94:95], s[46:47], v[197:198]
	v_fma_f64 v[203:204], v[94:95], s[36:37], v[201:202]
	;; [unrolled: 1-line block ×7, first 2 shown]
	v_fma_f64 v[213:214], v[80:81], s[24:25], -v[213:214]
	v_fma_f64 v[223:224], v[80:81], s[0:1], v[215:216]
	v_fma_f64 v[215:216], v[80:81], s[0:1], -v[215:216]
	v_fma_f64 v[231:232], v[76:77], s[26:27], v[229:230]
	v_fma_f64 v[229:230], v[76:77], s[38:39], v[229:230]
	;; [unrolled: 1-line block ×7, first 2 shown]
	v_add_f64_e32 v[42:43], v[42:43], v[54:55]
	v_add_f64_e32 v[40:41], v[40:41], v[52:53]
	v_mul_f64_e32 v[52:53], s[30:31], v[120:121]
	v_mul_f64_e32 v[54:55], s[28:29], v[120:121]
	v_add_f64_e32 v[44:45], v[126:127], v[44:45]
	v_fma_f64 v[253:254], v[68:69], s[16:17], v[245:246]
	v_fma_f64 v[245:246], v[68:69], s[16:17], -v[245:246]
	v_fma_f64 v[58:59], v[68:69], s[18:19], v[247:248]
	v_fma_f64 v[247:248], v[68:69], s[18:19], -v[247:248]
	v_add_f64_e32 v[42:43], v[42:43], v[50:51]
	v_add_f64_e32 v[40:41], v[40:41], v[48:49]
	v_mul_f64_e32 v[48:49], s[8:9], v[120:121]
	v_mul_f64_e32 v[50:51], s[14:15], v[120:121]
	v_fma_f64 v[120:121], v[116:117], s[16:17], v[46:47]
	v_fma_f64 v[46:47], v[116:117], s[16:17], -v[46:47]
	v_fma_f64 v[126:127], v[116:117], s[24:25], v[52:53]
	v_fma_f64 v[52:53], v[116:117], s[24:25], -v[52:53]
	;; [unrolled: 2-line block ×3, first 2 shown]
	v_add_f64_e32 v[38:39], v[42:43], v[38:39]
	v_add_f64_e32 v[36:37], v[40:41], v[36:37]
	v_mul_f64_e32 v[40:41], s[18:19], v[122:123]
	v_add_f64_e32 v[46:47], v[12:13], v[46:47]
	v_add_f64_e32 v[52:53], v[12:13], v[52:53]
	;; [unrolled: 1-line block ×5, first 2 shown]
	v_mul_f64_e32 v[36:37], s[24:25], v[122:123]
	v_fma_f64 v[42:43], v[124:125], s[42:43], v[40:41]
	v_fma_f64 v[40:41], v[124:125], s[28:29], v[40:41]
	v_add_f64_e32 v[30:31], v[34:35], v[30:31]
	v_add_f64_e32 v[28:29], v[32:33], v[28:29]
	v_mul_f64_e32 v[32:33], s[22:23], v[122:123]
	v_fma_f64 v[38:39], v[124:125], s[36:37], v[36:37]
	v_fma_f64 v[36:37], v[124:125], s[30:31], v[36:37]
	v_add_f64_e32 v[42:43], v[14:15], v[42:43]
	v_add_f64_e32 v[40:41], v[14:15], v[40:41]
	;; [unrolled: 1-line block ×4, first 2 shown]
	v_mul_f64_e32 v[28:29], s[16:17], v[122:123]
	v_mul_f64_e32 v[30:31], s[20:21], v[122:123]
	v_fma_f64 v[34:35], v[124:125], s[44:45], v[32:33]
	v_fma_f64 v[32:33], v[124:125], s[14:15], v[32:33]
	;; [unrolled: 1-line block ×3, first 2 shown]
	v_fma_f64 v[48:49], v[116:117], s[20:21], -v[48:49]
	v_add_f64_e32 v[38:39], v[14:15], v[38:39]
	v_add_f64_e32 v[36:37], v[14:15], v[36:37]
	;; [unrolled: 1-line block ×5, first 2 shown]
	v_fma_f64 v[24:25], v[124:125], s[46:47], v[28:29]
	v_fma_f64 v[26:27], v[124:125], s[34:35], v[28:29]
	;; [unrolled: 1-line block ×5, first 2 shown]
	v_fma_f64 v[50:51], v[116:117], s[22:23], -v[50:51]
	v_mul_f64_e32 v[116:117], s[0:1], v[116:117]
	v_add_f64_e32 v[34:35], v[14:15], v[34:35]
	v_add_f64_e32 v[32:33], v[14:15], v[32:33]
	;; [unrolled: 1-line block ×13, first 2 shown]
	v_mul_f64_e32 v[20:21], s[20:21], v[110:111]
	v_add_f64_e64 v[116:117], v[116:117], -v[118:119]
	v_add_f64_e32 v[118:119], v[12:13], v[120:121]
	v_add_f64_e32 v[120:121], v[12:13], v[122:123]
	;; [unrolled: 1-line block ×5, first 2 shown]
	v_mul_f64_e32 v[44:45], s[18:19], v[110:111]
	v_mul_f64_e32 v[136:137], s[0:1], v[110:111]
	v_add_f64_e32 v[50:51], v[12:13], v[50:51]
	v_mul_f64_e32 v[110:111], s[24:25], v[110:111]
	v_add_f64_e32 v[48:49], v[179:180], v[48:49]
	v_add_f64_e32 v[34:35], v[156:157], v[34:35]
	;; [unrolled: 1-line block ×6, first 2 shown]
	scratch_store_b64 off, v[16:17], off offset:20 ; 8-byte Folded Spill
	v_dual_mov_b32 v16, v191 :: v_dual_mov_b32 v17, v192
	v_dual_mov_b32 v18, v193 :: v_dual_mov_b32 v19, v194
	v_fma_f64 v[191:192], v[84:85], s[16:17], v[183:184]
	v_fma_f64 v[22:23], v[114:115], s[40:41], v[20:21]
	v_add_f64_e32 v[12:13], v[12:13], v[116:117]
	v_fma_f64 v[20:21], v[114:115], s[8:9], v[20:21]
	v_fma_f64 v[183:184], v[84:85], s[16:17], -v[183:184]
	v_add_f64_e32 v[30:31], v[150:151], v[30:31]
	v_add_f64_e32 v[28:29], v[152:153], v[28:29]
	v_mul_f64_e32 v[150:151], s[0:1], v[64:65]
	v_fma_f64 v[116:117], v[114:115], s[42:43], v[44:45]
	v_fma_f64 v[44:45], v[114:115], s[28:29], v[44:45]
	;; [unrolled: 1-line block ×5, first 2 shown]
	v_mul_f64_e32 v[144:145], s[0:1], v[104:105]
	v_mul_f64_e32 v[104:105], s[18:19], v[104:105]
	v_add_f64_e32 v[110:111], v[112:113], v[110:111]
	v_mul_f64_e32 v[112:113], s[28:29], v[102:103]
	v_add_f64_e32 v[50:51], v[181:182], v[50:51]
	v_add_f64_e32 v[36:37], v[205:206], v[36:37]
	;; [unrolled: 1-line block ×4, first 2 shown]
	v_fma_f64 v[152:153], v[66:67], s[26:27], v[150:151]
	v_add_f64_e32 v[28:29], v[116:117], v[28:29]
	v_add_f64_e32 v[30:31], v[44:45], v[30:31]
	;; [unrolled: 1-line block ×4, first 2 shown]
	v_fma_f64 v[148:149], v[108:109], s[26:27], v[144:145]
	v_fma_f64 v[144:145], v[108:109], s[38:39], v[144:145]
	;; [unrolled: 1-line block ×3, first 2 shown]
	v_add_f64_e32 v[104:105], v[106:107], v[104:105]
	v_mul_f64_e32 v[106:107], s[8:9], v[102:103]
	v_mul_f64_e32 v[163:164], s[38:39], v[102:103]
	;; [unrolled: 1-line block ×3, first 2 shown]
	v_fma_f64 v[171:172], v[98:99], s[18:19], v[112:113]
	v_fma_f64 v[112:113], v[98:99], s[18:19], -v[112:113]
	v_add_f64_e32 v[36:37], v[237:238], v[36:37]
	v_add_f64_e32 v[52:53], v[167:168], v[52:53]
	v_add_f64_e32 v[28:29], v[199:200], v[28:29]
	v_add_f64_e32 v[30:31], v[197:198], v[30:31]
	v_add_f64_e32 v[34:35], v[203:204], v[34:35]
	v_add_f64_e32 v[32:33], v[201:202], v[32:33]
	v_add_f64_e32 v[24:25], v[148:149], v[24:25]
	v_add_f64_e32 v[26:27], v[144:145], v[26:27]
	v_add_f64_e32 v[40:41], v[108:109], v[40:41]
	v_add_f64_e32 v[14:15], v[104:105], v[14:15]
	v_fma_f64 v[169:170], v[98:99], s[20:21], v[106:107]
	v_fma_f64 v[106:107], v[98:99], s[20:21], -v[106:107]
	v_fma_f64 v[173:174], v[98:99], s[0:1], v[163:164]
	v_fma_f64 v[163:164], v[98:99], s[0:1], -v[163:164]
	v_fma_f64 v[177:178], v[98:99], s[16:17], v[102:103]
	v_fma_f64 v[102:103], v[98:99], s[16:17], -v[102:103]
	v_mul_f64_e32 v[98:99], s[24:25], v[98:99]
	v_add_f64_e32 v[44:45], v[112:113], v[48:49]
	v_add_f64_e32 v[108:109], v[191:192], v[124:125]
	v_mul_f64_e32 v[124:125], s[18:19], v[64:65]
	v_mul_f64_e32 v[144:145], s[20:21], v[64:65]
	v_add_f64_e32 v[52:53], v[215:216], v[52:53]
	v_add_f64_e32 v[28:29], v[231:232], v[28:29]
	v_add_f64_e32 v[30:31], v[229:230], v[30:31]
	v_add_f64_e32 v[34:35], v[235:236], v[34:35]
	v_add_f64_e32 v[32:33], v[233:234], v[32:33]
	v_add_f64_e32 v[22:23], v[22:23], v[24:25]
	v_add_f64_e32 v[20:21], v[20:21], v[26:27]
	v_add_f64_e32 v[40:41], v[114:115], v[40:41]
	v_add_f64_e32 v[14:15], v[110:111], v[14:15]
	v_add_f64_e32 v[50:51], v[163:164], v[50:51]
	v_add_f64_e64 v[98:99], v[98:99], -v[100:101]
	v_mul_f64_e32 v[100:101], s[38:39], v[90:91]
	v_mul_f64_e32 v[90:91], s[14:15], v[90:91]
	v_fma_f64 v[148:149], v[66:67], s[40:41], v[144:145]
	v_fma_f64 v[144:145], v[66:67], s[8:9], v[144:145]
	v_add_f64_e32 v[52:53], v[247:248], v[52:53]
	v_add_f64_e32 v[50:51], v[213:214], v[50:51]
	v_fma_f64 v[185:186], v[84:85], s[0:1], v[100:101]
	v_fma_f64 v[100:101], v[84:85], s[0:1], -v[100:101]
	v_fma_f64 v[193:194], v[84:85], s[22:23], v[90:91]
	v_fma_f64 v[90:91], v[84:85], s[22:23], -v[90:91]
	v_mul_f64_e32 v[84:85], s[18:19], v[84:85]
	v_add_f64_e32 v[50:51], v[245:246], v[50:51]
	v_add_f64_e32 v[46:47], v[100:101], v[46:47]
	v_add_f64_e32 v[100:101], v[187:188], v[120:121]
	v_add_f64_e32 v[54:55], v[90:91], v[54:55]
	v_add_f64_e64 v[84:85], v[84:85], -v[86:87]
	v_mul_f64_e32 v[86:87], s[18:19], v[92:93]
	v_mul_f64_e32 v[92:93], s[22:23], v[92:93]
	v_add_f64_e32 v[90:91], v[189:190], v[122:123]
	v_mul_f64_e32 v[120:121], s[22:23], v[64:65]
	v_add_f64_e32 v[26:27], v[106:107], v[46:47]
	v_add_f64_e32 v[46:47], v[171:172], v[100:101]
	v_add_f64_e32 v[48:49], v[102:103], v[54:55]
	v_add_f64_e32 v[12:13], v[84:85], v[12:13]
	v_fma_f64 v[195:196], v[94:95], s[28:29], v[86:87]
	v_fma_f64 v[86:87], v[94:95], s[42:43], v[86:87]
	;; [unrolled: 1-line block ×3, first 2 shown]
	v_add_f64_e32 v[92:93], v[96:97], v[92:93]
	v_mul_f64_e32 v[96:97], s[42:43], v[88:89]
	v_mul_f64_e32 v[209:210], s[46:47], v[88:89]
	;; [unrolled: 1-line block ×3, first 2 shown]
	v_add_f64_e32 v[54:55], v[173:174], v[90:91]
	v_mul_f64_e32 v[84:85], s[24:25], v[64:65]
	v_mul_f64_e32 v[64:65], s[16:17], v[64:65]
	v_fma_f64 v[122:123], v[66:67], s[44:45], v[120:121]
	v_fma_f64 v[120:121], v[66:67], s[14:15], v[120:121]
	v_add_f64_e32 v[12:13], v[98:99], v[12:13]
	v_add_f64_e32 v[22:23], v[195:196], v[22:23]
	;; [unrolled: 1-line block ×5, first 2 shown]
	v_fma_f64 v[217:218], v[80:81], s[18:19], v[96:97]
	v_fma_f64 v[96:97], v[80:81], s[18:19], -v[96:97]
	v_fma_f64 v[219:220], v[80:81], s[16:17], v[209:210]
	v_fma_f64 v[209:210], v[80:81], s[16:17], -v[209:210]
	;; [unrolled: 2-line block ×3, first 2 shown]
	v_mul_f64_e32 v[80:81], s[22:23], v[80:81]
	v_mul_f64_e32 v[92:93], s[8:9], v[60:61]
	v_add_f64_e32 v[54:55], v[221:222], v[54:55]
	v_fma_f64 v[104:105], v[66:67], s[30:31], v[84:85]
	v_fma_f64 v[84:85], v[66:67], s[36:37], v[84:85]
	v_add_f64_e32 v[64:65], v[132:133], v[64:65]
	v_add_f64_e32 v[26:27], v[96:97], v[26:27]
	;; [unrolled: 1-line block ×5, first 2 shown]
	v_add_f64_e64 v[80:81], v[80:81], -v[82:83]
	v_mul_f64_e32 v[82:83], s[22:23], v[74:75]
	v_mul_f64_e32 v[74:75], s[20:21], v[74:75]
	;; [unrolled: 1-line block ×3, first 2 shown]
	v_fma_f64 v[100:101], v[56:57], s[20:21], v[92:93]
	v_fma_f64 v[92:93], v[56:57], s[20:21], -v[92:93]
	v_add_f64_e32 v[54:55], v[253:254], v[54:55]
	v_add_f64_e32 v[12:13], v[80:81], v[12:13]
	v_fma_f64 v[227:228], v[76:77], s[44:45], v[82:83]
	v_fma_f64 v[82:83], v[76:77], s[14:15], v[82:83]
	;; [unrolled: 1-line block ×3, first 2 shown]
	v_add_f64_e32 v[74:75], v[78:79], v[74:75]
	v_mul_f64_e32 v[78:79], s[14:15], v[72:73]
	v_mul_f64_e32 v[241:242], s[38:39], v[72:73]
	;; [unrolled: 1-line block ×4, first 2 shown]
	v_fma_f64 v[96:97], v[56:57], s[22:23], v[88:89]
	v_fma_f64 v[88:89], v[56:57], s[22:23], -v[88:89]
	v_add_f64_e32 v[22:23], v[227:228], v[22:23]
	v_add_f64_e32 v[20:21], v[82:83], v[20:21]
	v_add_f64_e32 v[40:41], v[76:77], v[40:41]
	v_add_f64_e32 v[76:77], v[1:2], v[10:11]
	v_fma_f64 v[249:250], v[68:69], s[22:23], v[78:79]
	v_fma_f64 v[78:79], v[68:69], s[22:23], -v[78:79]
	v_fma_f64 v[251:252], v[68:69], s[0:1], v[241:242]
	v_fma_f64 v[241:242], v[68:69], s[0:1], -v[241:242]
	v_fma_f64 v[62:63], v[68:69], s[24:25], v[72:73]
	v_fma_f64 v[72:73], v[68:69], s[24:25], -v[72:73]
	v_mul_f64_e32 v[68:69], s[20:21], v[68:69]
	v_fma_f64 v[94:95], v[56:57], s[24:25], v[80:81]
	v_fma_f64 v[80:81], v[56:57], s[24:25], -v[80:81]
	v_add_f64_e32 v[74:75], v[74:75], v[14:15]
	v_add_f64_e32 v[10:11], v[104:105], v[22:23]
	;; [unrolled: 1-line block ×9, first 2 shown]
	v_add_f64_e64 v[68:69], v[68:69], -v[70:71]
	v_add_f64_e32 v[70:71], v[185:186], v[118:119]
	v_add_f64_e32 v[118:119], v[193:194], v[126:127]
	v_fma_f64 v[126:127], v[66:67], s[28:29], v[124:125]
	v_fma_f64 v[124:125], v[66:67], s[42:43], v[124:125]
	v_fma_f64 v[66:67], v[66:67], s[38:39], v[150:151]
	v_add_f64_e32 v[72:73], v[239:240], v[38:39]
	v_dual_mov_b32 v194, v19 :: v_dual_mov_b32 v193, v18
	v_dual_mov_b32 v192, v17 :: v_dual_mov_b32 v191, v16
	v_add_f64_e32 v[18:19], v[122:123], v[28:29]
	v_add_f64_e32 v[16:17], v[96:97], v[46:47]
	;; [unrolled: 1-line block ×13, first 2 shown]
	v_mul_u32_u24_e32 v52, 13, v129
	v_add_f64_e32 v[24:25], v[217:218], v[24:25]
	v_add_f64_e32 v[86:87], v[225:226], v[90:91]
	v_mul_f64_e32 v[90:91], s[42:43], v[60:61]
	v_mul_f64_e32 v[60:61], s[38:39], v[60:61]
	v_add_f64_e32 v[70:71], v[223:224], v[70:71]
	v_add_f64_e32 v[24:25], v[249:250], v[24:25]
	v_add_f64_e32 v[62:63], v[62:63], v[86:87]
	v_fma_f64 v[98:99], v[56:57], s[18:19], v[90:91]
	v_fma_f64 v[90:91], v[56:57], s[18:19], -v[90:91]
	v_fma_f64 v[102:103], v[56:57], s[0:1], v[60:61]
	v_fma_f64 v[60:61], v[56:57], s[0:1], -v[60:61]
	v_mul_f64_e32 v[56:57], s[16:17], v[56:57]
	v_add_f64_e32 v[58:59], v[58:59], v[70:71]
	v_add_f64_e32 v[70:71], v[243:244], v[42:43]
	;; [unrolled: 1-line block ×6, first 2 shown]
	v_add_f64_e64 v[56:57], v[56:57], -v[134:135]
	v_dual_mov_b32 v134, v255 :: v_dual_mov_b32 v135, v131
	v_dual_mov_b32 v255, v128 :: v_dual_mov_b32 v128, v0
	scratch_load_b64 v[0:1], off, off offset:20 th:TH_LOAD_LU ; 8-byte Folded Reload
	v_add_f64_e32 v[40:41], v[100:101], v[58:59]
	v_add_f64_e32 v[46:47], v[152:153], v[70:71]
	;; [unrolled: 1-line block ×3, first 2 shown]
	v_lshl_add_u32 v52, v52, 4, v255
	v_add_f64_e32 v[48:49], v[56:57], v[68:69]
	s_wait_loadcnt 0x0
	v_add_f64_e32 v[78:79], v[0:1], v[8:9]
	v_add_f64_e32 v[8:9], v[94:95], v[24:25]
	;; [unrolled: 1-line block ×3, first 2 shown]
	s_delay_alu instid0(VALU_DEP_3)
	v_add_f64_e32 v[4:5], v[78:79], v[4:5]
	ds_store_b128 v52, v[36:39] offset:32
	ds_store_b128 v52, v[32:35] offset:48
	;; [unrolled: 1-line block ×11, first 2 shown]
	ds_store_b128 v52, v[4:7]
	ds_store_b128 v52, v[191:194] offset:192
.LBB0_7:
	s_wait_alu 0xfffe
	s_or_b32 exec_lo, exec_lo, s33
	scratch_load_b64 v[111:112], off, off   ; 8-byte Folded Reload
	v_and_b32_e32 v5, 0xff, v129
	global_wb scope:SCOPE_SE
	s_wait_storecnt 0x0
	s_wait_loadcnt_dscnt 0x0
	s_barrier_signal -1
	s_barrier_wait -1
	global_inv scope:SCOPE_SE
	v_mul_lo_u16 v5, 0x4f, v5
	s_mov_b32 s0, 0x134454ff
	s_mov_b32 s1, 0x3fee6f0e
	;; [unrolled: 1-line block ×3, first 2 shown]
	s_wait_alu 0xfffe
	s_mov_b32 s8, s0
	v_lshrrev_b16 v84, 10, v5
	s_mov_b32 s14, 0x4755a5e
	s_mov_b32 s15, 0x3fe2cf23
	;; [unrolled: 1-line block ×3, first 2 shown]
	s_wait_alu 0xfffe
	s_mov_b32 s16, s14
	v_mul_lo_u16 v5, v84, 13
	s_mov_b32 s18, 0x372fe950
	s_mov_b32 s19, 0x3fd3c6ef
	s_delay_alu instid0(VALU_DEP_1) | instskip(NEXT) | instid1(VALU_DEP_1)
	v_sub_nc_u16 v5, v129, v5
	v_and_b32_e32 v85, 0xff, v5
	s_delay_alu instid0(VALU_DEP_1) | instskip(SKIP_3) | instid1(VALU_DEP_3)
	v_lshlrev_b32_e32 v5, 6, v85
	v_and_b32_e32 v4, 0xff, v111
	v_add_co_u32 v112, s20, 0x4e, v111
	v_add_co_u32 v110, s22, 0x9c, v111
	v_mul_lo_u16 v4, 0x4f, v4
	s_delay_alu instid0(VALU_DEP_1) | instskip(NEXT) | instid1(VALU_DEP_1)
	v_lshrrev_b16 v88, 10, v4
	v_mul_lo_u16 v4, v88, 13
	s_delay_alu instid0(VALU_DEP_1) | instskip(NEXT) | instid1(VALU_DEP_1)
	v_sub_nc_u16 v4, v111, v4
	v_and_b32_e32 v89, 0xff, v4
	s_delay_alu instid0(VALU_DEP_1)
	v_lshlrev_b32_e32 v4, 6, v89
	s_clause 0x5
	global_load_b128 v[62:65], v4, s[2:3]
	global_load_b128 v[58:61], v5, s[2:3]
	global_load_b128 v[70:73], v4, s[2:3] offset:16
	global_load_b128 v[66:69], v5, s[2:3] offset:16
	;; [unrolled: 1-line block ×4, first 2 shown]
	v_and_b32_e32 v4, 0xff, v112
	s_clause 0x1
	global_load_b128 v[117:120], v5, s[2:3] offset:32
	global_load_b128 v[113:116], v5, s[2:3] offset:48
	v_mul_lo_u16 v4, 0x4f, v4
	s_delay_alu instid0(VALU_DEP_1) | instskip(NEXT) | instid1(VALU_DEP_1)
	v_lshrrev_b16 v86, 10, v4
	v_mul_lo_u16 v4, v86, 13
	s_delay_alu instid0(VALU_DEP_1) | instskip(NEXT) | instid1(VALU_DEP_1)
	v_sub_nc_u16 v4, v112, v4
	v_and_b32_e32 v87, 0xff, v4
	s_delay_alu instid0(VALU_DEP_1)
	v_lshlrev_b32_e32 v4, 6, v87
	s_clause 0x3
	global_load_b128 v[102:105], v4, s[2:3]
	global_load_b128 v[98:101], v4, s[2:3] offset:16
	global_load_b128 v[94:97], v4, s[2:3] offset:32
	global_load_b128 v[90:93], v4, s[2:3] offset:48
	ds_load_b128 v[4:7], v162 offset:3120
	ds_load_b128 v[12:15], v162 offset:3744
	;; [unrolled: 1-line block ×7, first 2 shown]
	s_wait_loadcnt_dscnt 0xb06
	v_mul_f64_e32 v[8:9], v[6:7], v[64:65]
	v_mul_f64_e32 v[36:37], v[4:5], v[64:65]
	s_wait_loadcnt_dscnt 0xa05
	v_mul_f64_e32 v[40:41], v[14:15], v[60:61]
	v_mul_f64_e32 v[42:43], v[12:13], v[60:61]
	;; [unrolled: 3-line block ×3, first 2 shown]
	s_wait_loadcnt 0x7
	scratch_store_b128 off, v[74:77], off offset:404 ; 16-byte Folded Spill
	s_wait_loadcnt 0x5
	s_clause 0x5
	scratch_store_b128 off, v[117:120], off offset:420
	scratch_store_b128 off, v[62:65], off offset:260
	;; [unrolled: 1-line block ×6, first 2 shown]
	s_wait_loadcnt 0x4
	scratch_store_b128 off, v[113:116], off offset:388 ; 16-byte Folded Spill
	s_wait_loadcnt 0x3
	scratch_store_b128 off, v[102:105], off offset:324 ; 16-byte Folded Spill
	s_wait_loadcnt 0x2
	scratch_store_b128 off, v[98:101], off offset:308 ; 16-byte Folded Spill
	v_fma_f64 v[10:11], v[4:5], v[62:63], -v[8:9]
	v_fma_f64 v[8:9], v[6:7], v[62:63], v[36:37]
	v_fma_f64 v[6:7], v[12:13], v[58:59], -v[40:41]
	v_fma_f64 v[4:5], v[14:15], v[58:59], v[42:43]
	;; [unrolled: 2-line block ×3, first 2 shown]
	ds_load_b128 v[16:19], v162 offset:4368
	s_wait_dscnt 0x4
	v_mul_f64_e32 v[48:49], v[22:23], v[68:69]
	v_mul_f64_e32 v[52:53], v[20:21], v[68:69]
	ds_load_b128 v[36:39], v162 offset:13104
	s_wait_dscnt 0x3
	v_mul_f64_e32 v[40:41], v[30:31], v[108:109]
	v_mul_f64_e32 v[42:43], v[28:29], v[108:109]
	v_add_co_u32 v108, s21, 0x75, v111
	s_wait_loadcnt 0x1
	scratch_store_b128 off, v[94:97], off offset:292 ; 16-byte Folded Spill
	s_wait_loadcnt 0x0
	scratch_store_b128 off, v[90:93], off offset:276 ; 16-byte Folded Spill
	v_add_f64_e64 v[126:127], v[14:15], -v[10:11]
	v_fma_f64 v[50:51], v[20:21], v[66:67], -v[48:49]
	v_fma_f64 v[44:45], v[22:23], v[66:67], v[52:53]
	ds_load_b128 v[20:23], v162 offset:7488
	v_mul_f64_e32 v[54:55], v[26:27], v[76:77]
	v_mul_f64_e32 v[56:57], v[24:25], v[76:77]
	v_fma_f64 v[82:83], v[28:29], v[106:107], -v[40:41]
	v_fma_f64 v[80:81], v[30:31], v[106:107], v[42:43]
	s_wait_dscnt 0x2
	v_mul_f64_e32 v[28:29], v[18:19], v[104:105]
	v_mul_f64_e32 v[30:31], v[16:17], v[104:105]
	v_fma_f64 v[78:79], v[24:25], v[74:75], -v[54:55]
	v_fma_f64 v[76:77], v[26:27], v[74:75], v[56:57]
	s_wait_dscnt 0x1
	v_mul_f64_e32 v[24:25], v[38:39], v[115:116]
	v_mul_f64_e32 v[26:27], v[36:37], v[115:116]
	v_fma_f64 v[54:55], v[16:17], v[102:103], -v[28:29]
	v_fma_f64 v[52:53], v[18:19], v[102:103], v[30:31]
	ds_load_b128 v[16:19], v162 offset:10608
	v_mul_f64_e32 v[58:59], v[32:33], v[119:120]
	v_mul_f64_e32 v[46:47], v[34:35], v[119:120]
	v_and_b32_e32 v116, 0xff, v108
	v_add_f64_e64 v[122:123], v[10:11], -v[82:83]
	v_add_f64_e64 v[124:125], v[14:15], -v[78:79]
	;; [unrolled: 1-line block ×3, first 2 shown]
	v_fma_f64 v[72:73], v[36:37], v[113:114], -v[24:25]
	v_fma_f64 v[74:75], v[38:39], v[113:114], v[26:27]
	s_wait_dscnt 0x1
	v_mul_f64_e32 v[24:25], v[22:23], v[100:101]
	v_mul_f64_e32 v[26:27], v[20:21], v[100:101]
	v_fma_f64 v[68:69], v[34:35], v[117:118], v[58:59]
	v_fma_f64 v[70:71], v[32:33], v[117:118], -v[46:47]
	v_and_b32_e32 v117, 0xff, v110
	v_add_f64_e64 v[118:119], v[8:9], -v[80:81]
	v_fma_f64 v[62:63], v[20:21], v[98:99], -v[24:25]
	v_fma_f64 v[58:59], v[22:23], v[98:99], v[26:27]
	s_wait_dscnt 0x0
	v_mul_f64_e32 v[20:21], v[18:19], v[96:97]
	v_mul_f64_e32 v[22:23], v[16:17], v[96:97]
	v_add_f64_e64 v[136:137], v[50:51], -v[70:71]
	s_delay_alu instid0(VALU_DEP_3) | instskip(NEXT) | instid1(VALU_DEP_3)
	v_fma_f64 v[60:61], v[16:17], v[94:95], -v[20:21]
	v_fma_f64 v[56:57], v[18:19], v[94:95], v[22:23]
	ds_load_b128 v[16:19], v162 offset:13728
	s_wait_dscnt 0x0
	v_mul_f64_e32 v[20:21], v[18:19], v[92:93]
	s_delay_alu instid0(VALU_DEP_1) | instskip(SKIP_1) | instid1(VALU_DEP_1)
	v_fma_f64 v[64:65], v[16:17], v[90:91], -v[20:21]
	v_mul_f64_e32 v[16:17], v[16:17], v[92:93]
	v_fma_f64 v[66:67], v[18:19], v[90:91], v[16:17]
	v_mul_lo_u16 v16, 0x4f, v116
	s_delay_alu instid0(VALU_DEP_1) | instskip(NEXT) | instid1(VALU_DEP_1)
	v_lshrrev_b16 v90, 10, v16
	v_mul_lo_u16 v16, v90, 13
	s_delay_alu instid0(VALU_DEP_1) | instskip(NEXT) | instid1(VALU_DEP_1)
	v_sub_nc_u16 v16, v108, v16
	v_and_b32_e32 v91, 0xff, v16
	ds_load_b128 v[16:19], v162 offset:4992
	v_lshlrev_b32_e32 v32, 6, v91
	s_clause 0x1
	global_load_b128 v[24:27], v32, s[2:3]
	global_load_b128 v[33:36], v32, s[2:3] offset:32
	s_wait_loadcnt_dscnt 0x100
	v_mul_f64_e32 v[20:21], v[18:19], v[26:27]
	scratch_store_b128 off, v[24:27], off offset:488 ; 16-byte Folded Spill
	s_wait_loadcnt 0x0
	scratch_store_b128 off, v[33:36], off offset:504 ; 16-byte Folded Spill
	v_fma_f64 v[22:23], v[16:17], v[24:25], -v[20:21]
	v_mul_f64_e32 v[16:17], v[16:17], v[26:27]
	global_load_b128 v[26:29], v32, s[2:3] offset:16
	v_fma_f64 v[20:21], v[18:19], v[24:25], v[16:17]
	ds_load_b128 v[16:19], v162 offset:8112
	s_wait_loadcnt_dscnt 0x0
	v_mul_f64_e32 v[24:25], v[18:19], v[28:29]
	scratch_store_b128 off, v[26:29], off offset:520 ; 16-byte Folded Spill
	v_fma_f64 v[24:25], v[16:17], v[26:27], -v[24:25]
	v_mul_f64_e32 v[16:17], v[16:17], v[28:29]
	s_delay_alu instid0(VALU_DEP_1) | instskip(SKIP_3) | instid1(VALU_DEP_1)
	v_fma_f64 v[26:27], v[18:19], v[26:27], v[16:17]
	ds_load_b128 v[16:19], v162 offset:11232
	s_wait_dscnt 0x0
	v_mul_f64_e32 v[28:29], v[18:19], v[35:36]
	v_fma_f64 v[30:31], v[16:17], v[33:34], -v[28:29]
	v_mul_f64_e32 v[16:17], v[16:17], v[35:36]
	s_delay_alu instid0(VALU_DEP_1)
	v_fma_f64 v[28:29], v[18:19], v[33:34], v[16:17]
	global_load_b128 v[34:37], v32, s[2:3] offset:48
	ds_load_b128 v[16:19], v162 offset:14352
	s_wait_loadcnt_dscnt 0x0
	v_mul_f64_e32 v[32:33], v[18:19], v[36:37]
	scratch_store_b128 off, v[34:37], off offset:536 ; 16-byte Folded Spill
	v_fma_f64 v[40:41], v[16:17], v[34:35], -v[32:33]
	v_mul_f64_e32 v[16:17], v[16:17], v[36:37]
	s_delay_alu instid0(VALU_DEP_1) | instskip(SKIP_3) | instid1(VALU_DEP_1)
	v_fma_f64 v[42:43], v[18:19], v[34:35], v[16:17]
	v_mul_lo_u16 v16, 0x4f, v117
	ds_load_b128 v[32:35], v162 offset:5616
	v_lshrrev_b16 v92, 10, v16
	v_mul_lo_u16 v16, v92, 13
	s_delay_alu instid0(VALU_DEP_1) | instskip(NEXT) | instid1(VALU_DEP_1)
	v_sub_nc_u16 v16, v110, v16
	v_and_b32_e32 v93, 0xff, v16
	s_delay_alu instid0(VALU_DEP_1)
	v_lshlrev_b32_e32 v94, 6, v93
	s_clause 0x2
	global_load_b128 v[36:39], v94, s[2:3]
	global_load_b128 v[46:49], v94, s[2:3] offset:16
	global_load_b128 v[95:98], v94, s[2:3] offset:32
	s_wait_loadcnt_dscnt 0x200
	v_mul_f64_e32 v[16:17], v[34:35], v[38:39]
	scratch_store_b128 off, v[36:39], off offset:552 ; 16-byte Folded Spill
	s_wait_loadcnt 0x1
	scratch_store_b128 off, v[46:49], off offset:440 ; 16-byte Folded Spill
	s_wait_loadcnt 0x0
	scratch_store_b128 off, v[95:98], off offset:472 ; 16-byte Folded Spill
	v_fma_f64 v[18:19], v[32:33], v[36:37], -v[16:17]
	v_mul_f64_e32 v[16:17], v[32:33], v[38:39]
	s_delay_alu instid0(VALU_DEP_1) | instskip(SKIP_3) | instid1(VALU_DEP_1)
	v_fma_f64 v[16:17], v[34:35], v[36:37], v[16:17]
	ds_load_b128 v[34:37], v162 offset:8736
	s_wait_dscnt 0x0
	v_mul_f64_e32 v[32:33], v[36:37], v[48:49]
	v_fma_f64 v[32:33], v[34:35], v[46:47], -v[32:33]
	v_mul_f64_e32 v[34:35], v[34:35], v[48:49]
	s_delay_alu instid0(VALU_DEP_1) | instskip(SKIP_3) | instid1(VALU_DEP_1)
	v_fma_f64 v[34:35], v[36:37], v[46:47], v[34:35]
	ds_load_b128 v[46:49], v162 offset:11856
	s_wait_dscnt 0x0
	v_mul_f64_e32 v[36:37], v[48:49], v[97:98]
	v_fma_f64 v[38:39], v[46:47], v[95:96], -v[36:37]
	v_mul_f64_e32 v[36:37], v[46:47], v[97:98]
	global_load_b128 v[98:101], v94, s[2:3] offset:48
	v_fma_f64 v[36:37], v[48:49], v[95:96], v[36:37]
	ds_load_b128 v[94:97], v162 offset:14976
	s_wait_loadcnt_dscnt 0x0
	v_mul_f64_e32 v[46:47], v[96:97], v[100:101]
	v_mul_f64_e32 v[48:49], v[94:95], v[100:101]
	scratch_store_b128 off, v[98:101], off offset:456 ; 16-byte Folded Spill
	v_fma_f64 v[46:47], v[94:95], v[98:99], -v[46:47]
	v_fma_f64 v[48:49], v[96:97], v[98:99], v[48:49]
	v_add_f64_e64 v[94:95], v[10:11], -v[14:15]
	v_add_f64_e64 v[96:97], v[82:83], -v[78:79]
	v_add_f64_e32 v[98:99], v[14:15], v[78:79]
	s_delay_alu instid0(VALU_DEP_2) | instskip(SKIP_2) | instid1(VALU_DEP_1)
	v_add_f64_e32 v[102:103], v[94:95], v[96:97]
	v_add_f64_e64 v[94:95], v[8:9], -v[12:13]
	v_add_f64_e64 v[96:97], v[80:81], -v[76:77]
	v_add_f64_e32 v[104:105], v[94:95], v[96:97]
	ds_load_b128 v[94:97], v162
	s_wait_dscnt 0x0
	v_fma_f64 v[106:107], v[98:99], -0.5, v[94:95]
	v_add_f64_e32 v[98:99], v[12:13], v[76:77]
	s_delay_alu instid0(VALU_DEP_1) | instskip(NEXT) | instid1(VALU_DEP_3)
	v_fma_f64 v[113:114], v[98:99], -0.5, v[96:97]
	v_fma_f64 v[98:99], v[118:119], s[0:1], v[106:107]
	v_fma_f64 v[106:107], v[118:119], s[8:9], v[106:107]
	s_delay_alu instid0(VALU_DEP_3) | instskip(SKIP_1) | instid1(VALU_DEP_4)
	v_fma_f64 v[100:101], v[122:123], s[8:9], v[113:114]
	v_fma_f64 v[113:114], v[122:123], s[0:1], v[113:114]
	;; [unrolled: 1-line block ×3, first 2 shown]
	s_wait_alu 0xfffe
	s_delay_alu instid0(VALU_DEP_4) | instskip(NEXT) | instid1(VALU_DEP_4)
	v_fma_f64 v[106:107], v[120:121], s[16:17], v[106:107]
	v_fma_f64 v[100:101], v[124:125], s[16:17], v[100:101]
	s_delay_alu instid0(VALU_DEP_4) | instskip(NEXT) | instid1(VALU_DEP_4)
	v_fma_f64 v[113:114], v[124:125], s[14:15], v[113:114]
	v_fma_f64 v[98:99], v[102:103], s[18:19], v[98:99]
	s_delay_alu instid0(VALU_DEP_4) | instskip(SKIP_4) | instid1(VALU_DEP_4)
	v_fma_f64 v[102:103], v[102:103], s[18:19], v[106:107]
	v_add_f64_e32 v[106:107], v[10:11], v[82:83]
	v_fma_f64 v[100:101], v[104:105], s[18:19], v[100:101]
	v_fma_f64 v[104:105], v[104:105], s[18:19], v[113:114]
	v_add_f64_e32 v[113:114], v[8:9], v[80:81]
	v_fma_f64 v[106:107], v[106:107], -0.5, v[94:95]
	v_add_f64_e32 v[94:95], v[94:95], v[10:11]
	s_delay_alu instid0(VALU_DEP_3) | instskip(SKIP_1) | instid1(VALU_DEP_3)
	v_fma_f64 v[113:114], v[113:114], -0.5, v[96:97]
	v_add_f64_e32 v[96:97], v[96:97], v[8:9]
	v_add_f64_e32 v[10:11], v[94:95], v[14:15]
	s_delay_alu instid0(VALU_DEP_3) | instskip(NEXT) | instid1(VALU_DEP_3)
	v_fma_f64 v[94:95], v[124:125], s[8:9], v[113:114]
	v_add_f64_e32 v[14:15], v[96:97], v[12:13]
	v_add_f64_e64 v[12:13], v[12:13], -v[8:9]
	s_delay_alu instid0(VALU_DEP_4) | instskip(NEXT) | instid1(VALU_DEP_3)
	v_add_f64_e32 v[8:9], v[10:11], v[78:79]
	v_add_f64_e32 v[10:11], v[14:15], v[76:77]
	v_add_f64_e64 v[14:15], v[78:79], -v[82:83]
	s_delay_alu instid0(VALU_DEP_3)
	v_add_f64_e32 v[8:9], v[8:9], v[82:83]
	v_add_f64_e64 v[76:77], v[76:77], -v[80:81]
	v_fma_f64 v[78:79], v[120:121], s[8:9], v[106:107]
	v_fma_f64 v[82:83], v[124:125], s[0:1], v[113:114]
	v_add_f64_e64 v[124:125], v[44:45], -v[68:69]
	v_add_f64_e32 v[10:11], v[10:11], v[80:81]
	v_fma_f64 v[80:81], v[120:121], s[0:1], v[106:107]
	v_add_f64_e32 v[96:97], v[126:127], v[14:15]
	v_add_f64_e32 v[106:107], v[12:13], v[76:77]
	v_fma_f64 v[12:13], v[118:119], s[14:15], v[78:79]
	v_fma_f64 v[14:15], v[122:123], s[16:17], v[82:83]
	;; [unrolled: 1-line block ×3, first 2 shown]
	v_add_f64_e64 v[82:83], v[72:73], -v[70:71]
	v_add_f64_e32 v[94:95], v[50:51], v[70:71]
	v_add_f64_e64 v[122:123], v[4:5], -v[74:75]
	v_add_f64_e64 v[126:127], v[6:7], -v[72:73]
	v_fma_f64 v[76:77], v[118:119], s[16:17], v[80:81]
	v_add_f64_e64 v[80:81], v[6:7], -v[50:51]
	v_fma_f64 v[12:13], v[96:97], s[18:19], v[12:13]
	v_fma_f64 v[14:15], v[106:107], s[18:19], v[14:15]
	;; [unrolled: 1-line block ×4, first 2 shown]
	v_add_f64_e32 v[106:107], v[80:81], v[82:83]
	v_add_f64_e64 v[80:81], v[4:5], -v[44:45]
	v_add_f64_e64 v[82:83], v[74:75], -v[68:69]
	s_delay_alu instid0(VALU_DEP_1) | instskip(SKIP_4) | instid1(VALU_DEP_1)
	v_add_f64_e32 v[113:114], v[80:81], v[82:83]
	ds_load_b128 v[80:83], v162 offset:624
	s_wait_dscnt 0x0
	v_fma_f64 v[118:119], v[94:95], -0.5, v[80:81]
	v_add_f64_e32 v[94:95], v[44:45], v[68:69]
	v_fma_f64 v[120:121], v[94:95], -0.5, v[82:83]
	s_delay_alu instid0(VALU_DEP_3) | instskip(SKIP_1) | instid1(VALU_DEP_3)
	v_fma_f64 v[94:95], v[122:123], s[0:1], v[118:119]
	v_fma_f64 v[118:119], v[122:123], s[8:9], v[118:119]
	;; [unrolled: 1-line block ×4, first 2 shown]
	s_delay_alu instid0(VALU_DEP_4) | instskip(NEXT) | instid1(VALU_DEP_4)
	v_fma_f64 v[94:95], v[124:125], s[14:15], v[94:95]
	v_fma_f64 v[118:119], v[124:125], s[16:17], v[118:119]
	s_delay_alu instid0(VALU_DEP_4) | instskip(NEXT) | instid1(VALU_DEP_4)
	v_fma_f64 v[96:97], v[136:137], s[16:17], v[96:97]
	v_fma_f64 v[120:121], v[136:137], s[14:15], v[120:121]
	;; [unrolled: 3-line block ×3, first 2 shown]
	v_add_f64_e32 v[106:107], v[6:7], v[72:73]
	v_fma_f64 v[96:97], v[113:114], s[18:19], v[96:97]
	v_fma_f64 v[120:121], v[113:114], s[18:19], v[120:121]
	v_add_f64_e32 v[113:114], v[4:5], v[74:75]
	s_delay_alu instid0(VALU_DEP_4) | instskip(SKIP_2) | instid1(VALU_DEP_4)
	v_fma_f64 v[106:107], v[106:107], -0.5, v[80:81]
	v_add_f64_e32 v[80:81], v[80:81], v[6:7]
	v_add_f64_e64 v[6:7], v[50:51], -v[6:7]
	v_fma_f64 v[113:114], v[113:114], -0.5, v[82:83]
	v_add_f64_e32 v[82:83], v[82:83], v[4:5]
	v_add_f64_e64 v[4:5], v[44:45], -v[4:5]
	v_add_f64_e32 v[50:51], v[80:81], v[50:51]
	s_delay_alu instid0(VALU_DEP_3) | instskip(SKIP_1) | instid1(VALU_DEP_3)
	v_add_f64_e32 v[80:81], v[82:83], v[44:45]
	v_fma_f64 v[82:83], v[136:137], s[8:9], v[113:114]
	v_add_f64_e32 v[44:45], v[50:51], v[70:71]
	s_delay_alu instid0(VALU_DEP_3) | instskip(SKIP_1) | instid1(VALU_DEP_3)
	v_add_f64_e32 v[50:51], v[80:81], v[68:69]
	v_add_f64_e64 v[80:81], v[70:71], -v[72:73]
	v_add_f64_e32 v[70:71], v[44:45], v[72:73]
	v_add_f64_e64 v[44:45], v[68:69], -v[74:75]
	v_fma_f64 v[68:69], v[124:125], s[0:1], v[106:107]
	v_add_f64_e32 v[72:73], v[50:51], v[74:75]
	v_fma_f64 v[50:51], v[124:125], s[8:9], v[106:107]
	v_fma_f64 v[74:75], v[136:137], s[0:1], v[113:114]
	v_add_f64_e32 v[4:5], v[4:5], v[44:45]
	v_add_f64_e32 v[6:7], v[6:7], v[80:81]
	v_add_f64_e64 v[113:114], v[54:55], -v[64:65]
	v_add_f64_e64 v[106:107], v[58:59], -v[56:57]
	v_fma_f64 v[44:45], v[122:123], s[14:15], v[50:51]
	v_fma_f64 v[50:51], v[122:123], s[16:17], v[68:69]
	;; [unrolled: 1-line block ×4, first 2 shown]
	v_add_f64_e64 v[126:127], v[62:63], -v[60:61]
	v_fma_f64 v[80:81], v[6:7], s[18:19], v[44:45]
	v_fma_f64 v[122:123], v[6:7], s[18:19], v[50:51]
	;; [unrolled: 1-line block ×4, first 2 shown]
	v_and_b32_e32 v4, 0xffff, v88
	s_delay_alu instid0(VALU_DEP_1) | instskip(NEXT) | instid1(VALU_DEP_1)
	v_mul_u32_u24_e32 v4, 0x41, v4
	v_add_nc_u32_e32 v4, v4, v89
	v_add_f64_e64 v[88:89], v[52:53], -v[66:67]
	s_delay_alu instid0(VALU_DEP_2)
	v_lshl_add_u32 v109, v4, 4, v255
	ds_load_b128 v[4:7], v162 offset:2496
	ds_load_b128 v[136:139], v162 offset:1248
	;; [unrolled: 1-line block ×3, first 2 shown]
	global_wb scope:SCOPE_SE
	s_wait_storecnt_dscnt 0x0
	s_barrier_signal -1
	s_barrier_wait -1
	global_inv scope:SCOPE_SE
	ds_store_b128 v109, v[8:11]
	v_add_f64_e64 v[8:9], v[54:55], -v[62:63]
	v_add_f64_e64 v[10:11], v[64:65], -v[60:61]
	ds_store_b128 v109, v[98:101] offset:208
	ds_store_b128 v109, v[12:15] offset:416
	;; [unrolled: 1-line block ×3, first 2 shown]
	v_and_b32_e32 v12, 0xffff, v84
	scratch_store_b32 off, v109, off offset:436 ; 4-byte Folded Spill
	ds_store_b128 v109, v[102:105] offset:832
	s_wait_alu 0xf1ff
	v_add_co_ci_u32_e64 v109, null, 0, 0, s21
	v_mul_u32_u24_e32 v12, 0x41, v12
	s_delay_alu instid0(VALU_DEP_1) | instskip(NEXT) | instid1(VALU_DEP_1)
	v_add_nc_u32_e32 v12, v12, v85
	v_lshl_add_u32 v12, v12, 4, v255
	ds_store_b128 v12, v[70:73]
	ds_store_b128 v12, v[94:97] offset:208
	ds_store_b128 v12, v[80:83] offset:416
	;; [unrolled: 1-line block ×3, first 2 shown]
	scratch_store_b32 off, v12, off offset:580 ; 4-byte Folded Spill
	ds_store_b128 v12, v[118:121] offset:832
	v_and_b32_e32 v12, 0xffff, v86
	s_delay_alu instid0(VALU_DEP_1) | instskip(NEXT) | instid1(VALU_DEP_1)
	v_mul_u32_u24_e32 v12, 0x41, v12
	v_add_nc_u32_e32 v12, v12, v87
	v_add_f64_e32 v[44:45], v[8:9], v[10:11]
	v_add_f64_e64 v[8:9], v[52:53], -v[58:59]
	v_add_f64_e64 v[10:11], v[66:67], -v[56:57]
	s_delay_alu instid0(VALU_DEP_4) | instskip(NEXT) | instid1(VALU_DEP_2)
	v_lshl_add_u32 v12, v12, 4, v255
	v_add_f64_e32 v[50:51], v[8:9], v[10:11]
	v_add_f64_e32 v[8:9], v[62:63], v[60:61]
	s_delay_alu instid0(VALU_DEP_1) | instskip(SKIP_1) | instid1(VALU_DEP_1)
	v_fma_f64 v[68:69], v[8:9], -0.5, v[136:137]
	v_add_f64_e32 v[8:9], v[58:59], v[56:57]
	v_fma_f64 v[74:75], v[8:9], -0.5, v[138:139]
	s_delay_alu instid0(VALU_DEP_3) | instskip(SKIP_1) | instid1(VALU_DEP_3)
	v_fma_f64 v[8:9], v[88:89], s[0:1], v[68:69]
	v_fma_f64 v[68:69], v[88:89], s[8:9], v[68:69]
	;; [unrolled: 1-line block ×4, first 2 shown]
	s_delay_alu instid0(VALU_DEP_3) | instskip(SKIP_1) | instid1(VALU_DEP_4)
	v_fma_f64 v[68:69], v[106:107], s[16:17], v[68:69]
	v_fma_f64 v[8:9], v[106:107], s[14:15], v[8:9]
	;; [unrolled: 1-line block ×3, first 2 shown]
	s_delay_alu instid0(VALU_DEP_4) | instskip(NEXT) | instid1(VALU_DEP_4)
	v_fma_f64 v[74:75], v[126:127], s[14:15], v[74:75]
	v_fma_f64 v[144:145], v[44:45], s[18:19], v[68:69]
	s_delay_alu instid0(VALU_DEP_4)
	v_fma_f64 v[8:9], v[44:45], s[18:19], v[8:9]
	v_add_f64_e32 v[44:45], v[54:55], v[64:65]
	v_fma_f64 v[10:11], v[50:51], s[18:19], v[10:11]
	v_fma_f64 v[146:147], v[50:51], s[18:19], v[74:75]
	v_add_f64_e32 v[50:51], v[52:53], v[66:67]
	v_add_f64_e32 v[74:75], v[138:139], v[52:53]
	v_fma_f64 v[44:45], v[44:45], -0.5, v[136:137]
	s_delay_alu instid0(VALU_DEP_3) | instskip(SKIP_4) | instid1(VALU_DEP_4)
	v_fma_f64 v[68:69], v[50:51], -0.5, v[138:139]
	v_add_f64_e32 v[50:51], v[136:137], v[54:55]
	v_add_f64_e64 v[54:55], v[62:63], -v[54:55]
	v_add_f64_e32 v[136:137], v[140:141], v[22:23]
	v_add_f64_e32 v[138:139], v[142:143], v[20:21]
	;; [unrolled: 1-line block ×4, first 2 shown]
	v_add_f64_e64 v[58:59], v[58:59], -v[52:53]
	s_delay_alu instid0(VALU_DEP_3) | instskip(NEXT) | instid1(VALU_DEP_3)
	v_add_f64_e32 v[50:51], v[50:51], v[60:61]
	v_add_f64_e32 v[52:53], v[62:63], v[56:57]
	v_add_f64_e64 v[60:61], v[60:61], -v[64:65]
	v_add_f64_e64 v[56:57], v[56:57], -v[66:67]
	v_fma_f64 v[62:63], v[106:107], s[8:9], v[44:45]
	v_fma_f64 v[44:45], v[106:107], s[0:1], v[44:45]
	v_add_f64_e64 v[106:107], v[26:27], -v[28:29]
	v_add_f64_e32 v[50:51], v[50:51], v[64:65]
	v_add_f64_e32 v[52:53], v[52:53], v[66:67]
	v_fma_f64 v[66:67], v[126:127], s[8:9], v[68:69]
	v_fma_f64 v[64:65], v[126:127], s[0:1], v[68:69]
	v_add_f64_e32 v[60:61], v[54:55], v[60:61]
	v_add_f64_e32 v[68:69], v[58:59], v[56:57]
	v_fma_f64 v[54:55], v[88:89], s[14:15], v[62:63]
	v_fma_f64 v[44:45], v[88:89], s[16:17], v[44:45]
	v_add_f64_e64 v[88:89], v[20:21], -v[42:43]
	v_add_f64_e64 v[126:127], v[24:25], -v[30:31]
	v_fma_f64 v[62:63], v[113:114], s[14:15], v[66:67]
	v_fma_f64 v[56:57], v[113:114], s[16:17], v[64:65]
	v_add_f64_e64 v[64:65], v[42:43], -v[28:29]
	v_add_f64_e64 v[113:114], v[22:23], -v[40:41]
	v_fma_f64 v[54:55], v[60:61], s[18:19], v[54:55]
	v_fma_f64 v[58:59], v[60:61], s[18:19], v[44:45]
	v_add_f64_e64 v[44:45], v[22:23], -v[24:25]
	v_fma_f64 v[60:61], v[68:69], s[18:19], v[62:63]
	v_add_f64_e64 v[62:63], v[40:41], -v[30:31]
	v_fma_f64 v[56:57], v[68:69], s[18:19], v[56:57]
	ds_store_b128 v12, v[50:53]
	ds_store_b128 v12, v[8:11] offset:208
	ds_store_b128 v12, v[54:57] offset:416
	ds_store_b128 v12, v[58:61] offset:624
	v_add_f64_e32 v[44:45], v[44:45], v[62:63]
	v_add_f64_e64 v[62:63], v[20:21], -v[26:27]
	v_and_b32_e32 v8, 0xffff, v90
	scratch_store_b32 off, v12, off offset:576 ; 4-byte Folded Spill
	ds_store_b128 v12, v[144:147] offset:832
	v_mul_u32_u24_e32 v8, 0x41, v8
	s_delay_alu instid0(VALU_DEP_1) | instskip(NEXT) | instid1(VALU_DEP_1)
	v_add_nc_u32_e32 v8, v8, v91
	v_lshl_add_u32 v8, v8, 4, v255
	v_add_f64_e32 v[68:69], v[62:63], v[64:65]
	v_add_f64_e32 v[62:63], v[24:25], v[30:31]
	s_delay_alu instid0(VALU_DEP_1) | instskip(SKIP_1) | instid1(VALU_DEP_1)
	v_fma_f64 v[66:67], v[62:63], -0.5, v[140:141]
	v_add_f64_e32 v[62:63], v[26:27], v[28:29]
	v_fma_f64 v[74:75], v[62:63], -0.5, v[142:143]
	s_delay_alu instid0(VALU_DEP_3) | instskip(SKIP_1) | instid1(VALU_DEP_3)
	v_fma_f64 v[62:63], v[88:89], s[0:1], v[66:67]
	v_fma_f64 v[66:67], v[88:89], s[8:9], v[66:67]
	;; [unrolled: 1-line block ×3, first 2 shown]
	s_delay_alu instid0(VALU_DEP_3) | instskip(SKIP_1) | instid1(VALU_DEP_4)
	v_fma_f64 v[62:63], v[106:107], s[14:15], v[62:63]
	v_fma_f64 v[74:75], v[113:114], s[0:1], v[74:75]
	;; [unrolled: 1-line block ×3, first 2 shown]
	s_delay_alu instid0(VALU_DEP_4) | instskip(NEXT) | instid1(VALU_DEP_4)
	v_fma_f64 v[64:65], v[126:127], s[16:17], v[64:65]
	v_fma_f64 v[62:63], v[44:45], s[18:19], v[62:63]
	s_delay_alu instid0(VALU_DEP_4) | instskip(NEXT) | instid1(VALU_DEP_4)
	v_fma_f64 v[74:75], v[126:127], s[14:15], v[74:75]
	v_fma_f64 v[66:67], v[44:45], s[18:19], v[66:67]
	v_add_f64_e32 v[44:45], v[22:23], v[40:41]
	v_fma_f64 v[64:65], v[68:69], s[18:19], v[64:65]
	s_delay_alu instid0(VALU_DEP_4) | instskip(SKIP_1) | instid1(VALU_DEP_4)
	v_fma_f64 v[68:69], v[68:69], s[18:19], v[74:75]
	v_add_f64_e32 v[74:75], v[20:21], v[42:43]
	v_fma_f64 v[44:45], v[44:45], -0.5, v[140:141]
	v_add_f64_e64 v[140:141], v[24:25], -v[22:23]
	v_add_f64_e32 v[22:23], v[136:137], v[24:25]
	v_add_f64_e32 v[24:25], v[138:139], v[26:27]
	v_add_f64_e64 v[26:27], v[26:27], -v[20:21]
	v_fma_f64 v[74:75], v[74:75], -0.5, v[142:143]
	v_add_f64_e64 v[142:143], v[18:19], -v[46:47]
	v_add_f64_e32 v[20:21], v[22:23], v[30:31]
	v_add_f64_e32 v[22:23], v[24:25], v[28:29]
	v_add_f64_e64 v[24:25], v[30:31], -v[40:41]
	v_add_f64_e64 v[28:29], v[28:29], -v[42:43]
	v_fma_f64 v[30:31], v[106:107], s[8:9], v[44:45]
	v_add_f64_e32 v[20:21], v[20:21], v[40:41]
	v_add_f64_e32 v[22:23], v[22:23], v[42:43]
	v_fma_f64 v[40:41], v[106:107], s[0:1], v[44:45]
	v_fma_f64 v[42:43], v[126:127], s[0:1], v[74:75]
	;; [unrolled: 1-line block ×3, first 2 shown]
	v_add_f64_e32 v[106:107], v[26:27], v[28:29]
	v_add_f64_e32 v[74:75], v[140:141], v[24:25]
	v_fma_f64 v[24:25], v[88:89], s[14:15], v[30:31]
	v_add_f64_e64 v[140:141], v[32:33], -v[38:39]
	v_add_f64_e64 v[126:127], v[16:17], -v[48:49]
	v_fma_f64 v[28:29], v[88:89], s[16:17], v[40:41]
	v_fma_f64 v[26:27], v[113:114], s[16:17], v[42:43]
	v_add_f64_e64 v[40:41], v[32:33], -v[18:19]
	v_add_f64_e64 v[42:43], v[38:39], -v[46:47]
	v_fma_f64 v[30:31], v[113:114], s[14:15], v[44:45]
	v_fma_f64 v[24:25], v[74:75], s[18:19], v[24:25]
	v_add_f64_e64 v[113:114], v[34:35], -v[36:37]
	v_fma_f64 v[28:29], v[74:75], s[18:19], v[28:29]
	v_fma_f64 v[26:27], v[106:107], s[18:19], v[26:27]
	v_add_f64_e32 v[44:45], v[40:41], v[42:43]
	v_add_f64_e64 v[40:41], v[34:35], -v[16:17]
	v_add_f64_e64 v[42:43], v[36:37], -v[48:49]
	v_fma_f64 v[30:31], v[106:107], s[18:19], v[30:31]
	ds_store_b128 v8, v[20:23]
	ds_store_b128 v8, v[62:65] offset:208
	ds_store_b128 v8, v[24:27] offset:416
	;; [unrolled: 1-line block ×3, first 2 shown]
	scratch_store_b32 off, v8, off offset:572 ; 4-byte Folded Spill
	v_add_f64_e32 v[74:75], v[40:41], v[42:43]
	v_add_f64_e32 v[40:41], v[18:19], v[46:47]
	ds_store_b128 v8, v[66:69] offset:832
	v_and_b32_e32 v8, 0xffff, v92
	s_delay_alu instid0(VALU_DEP_1) | instskip(NEXT) | instid1(VALU_DEP_1)
	v_mul_u32_u24_e32 v8, 0x41, v8
	v_add_nc_u32_e32 v8, v8, v93
	s_delay_alu instid0(VALU_DEP_1) | instskip(SKIP_2) | instid1(VALU_DEP_1)
	v_lshl_add_u32 v8, v8, 4, v255
	v_fma_f64 v[88:89], v[40:41], -0.5, v[4:5]
	v_add_f64_e32 v[40:41], v[16:17], v[48:49]
	v_fma_f64 v[106:107], v[40:41], -0.5, v[6:7]
	s_delay_alu instid0(VALU_DEP_3) | instskip(SKIP_1) | instid1(VALU_DEP_3)
	v_fma_f64 v[40:41], v[113:114], s[8:9], v[88:89]
	v_fma_f64 v[88:89], v[113:114], s[0:1], v[88:89]
	v_fma_f64 v[42:43], v[140:141], s[0:1], v[106:107]
	v_fma_f64 v[106:107], v[140:141], s[8:9], v[106:107]
	s_delay_alu instid0(VALU_DEP_4) | instskip(NEXT) | instid1(VALU_DEP_4)
	v_fma_f64 v[40:41], v[126:127], s[14:15], v[40:41]
	v_fma_f64 v[88:89], v[126:127], s[16:17], v[88:89]
	s_delay_alu instid0(VALU_DEP_4) | instskip(NEXT) | instid1(VALU_DEP_4)
	v_fma_f64 v[42:43], v[142:143], s[16:17], v[42:43]
	v_fma_f64 v[106:107], v[142:143], s[14:15], v[106:107]
	;; [unrolled: 3-line block ×3, first 2 shown]
	v_add_f64_e32 v[44:45], v[32:33], v[38:39]
	v_add_f64_e64 v[88:89], v[18:19], -v[32:33]
	v_fma_f64 v[42:43], v[74:75], s[18:19], v[42:43]
	v_fma_f64 v[138:139], v[74:75], s[18:19], v[106:107]
	v_add_f64_e32 v[74:75], v[34:35], v[36:37]
	v_fma_f64 v[44:45], v[44:45], -0.5, v[4:5]
	v_add_f64_e32 v[4:5], v[4:5], v[18:19]
	s_delay_alu instid0(VALU_DEP_3) | instskip(SKIP_1) | instid1(VALU_DEP_3)
	v_fma_f64 v[74:75], v[74:75], -0.5, v[6:7]
	v_add_f64_e32 v[6:7], v[6:7], v[16:17]
	v_add_f64_e32 v[4:5], v[4:5], v[32:33]
	v_add_f64_e64 v[32:33], v[16:17], -v[34:35]
	s_delay_alu instid0(VALU_DEP_3) | instskip(SKIP_1) | instid1(VALU_DEP_4)
	v_add_f64_e32 v[6:7], v[6:7], v[34:35]
	v_add_f64_e64 v[34:35], v[46:47], -v[38:39]
	v_add_f64_e32 v[4:5], v[4:5], v[38:39]
	v_fma_f64 v[38:39], v[142:143], s[8:9], v[74:75]
	s_delay_alu instid0(VALU_DEP_4) | instskip(NEXT) | instid1(VALU_DEP_3)
	v_add_f64_e32 v[6:7], v[6:7], v[36:37]
	v_add_f64_e32 v[16:17], v[4:5], v[46:47]
	v_add_f64_e64 v[4:5], v[48:49], -v[36:37]
	v_fma_f64 v[36:37], v[126:127], s[8:9], v[44:45]
	v_add_f64_e32 v[46:47], v[88:89], v[34:35]
	v_fma_f64 v[34:35], v[140:141], s[16:17], v[38:39]
	v_add_f64_e32 v[18:19], v[6:7], v[48:49]
	v_fma_f64 v[6:7], v[126:127], s[0:1], v[44:45]
	v_fma_f64 v[44:45], v[142:143], s[0:1], v[74:75]
	v_add_f64_e32 v[48:49], v[32:33], v[4:5]
	v_cmp_gt_u16_e64 s0, 13, v111
	v_add_co_ci_u32_e64 v111, null, 0, 0, s22
	v_fma_f64 v[4:5], v[113:114], s[14:15], v[6:7]
	v_fma_f64 v[6:7], v[113:114], s[16:17], v[36:37]
	v_fma_f64 v[36:37], v[140:141], s[14:15], v[44:45]
	v_fma_f64 v[34:35], v[48:49], s[18:19], v[34:35]
	v_add_co_ci_u32_e64 v113, null, 0, 0, s20
	v_fma_f64 v[32:33], v[46:47], s[18:19], v[4:5]
	v_fma_f64 v[4:5], v[46:47], s[18:19], v[6:7]
	;; [unrolled: 1-line block ×3, first 2 shown]
	ds_store_b128 v8, v[16:19]
	ds_store_b128 v8, v[32:35] offset:208
	ds_store_b128 v8, v[40:43] offset:416
	ds_store_b128 v8, v[136:139] offset:624
	scratch_store_b32 off, v8, off offset:568 ; 4-byte Folded Spill
	ds_store_b128 v8, v[4:7] offset:832
	global_wb scope:SCOPE_SE
	s_wait_storecnt_dscnt 0x0
	s_barrier_signal -1
	s_barrier_wait -1
	global_inv scope:SCOPE_SE
	ds_load_b128 v[36:39], v162
	ds_load_b128 v[28:31], v162 offset:624
	ds_load_b128 v[104:107], v162 offset:5200
	;; [unrolled: 1-line block ×23, first 2 shown]
                                        ; implicit-def: $vgpr48_vgpr49
	s_and_saveexec_b32 s1, s0
	s_cbranch_execz .LBB0_9
; %bb.8:
	ds_load_b128 v[4:7], v162 offset:4992
	ds_load_b128 v[191:194], v162 offset:10192
	;; [unrolled: 1-line block ×3, first 2 shown]
.LBB0_9:
	s_wait_alu 0xfffe
	s_or_b32 exec_lo, exec_lo, s1
	scratch_load_b64 v[132:133], off, off   ; 8-byte Folded Reload
	s_mov_b32 s15, 0xbfebb67a
	s_wait_loadcnt 0x0
	v_lshlrev_b64_e32 v[114:115], 5, v[132:133]
	s_delay_alu instid0(VALU_DEP_1) | instskip(SKIP_1) | instid1(VALU_DEP_2)
	v_add_co_u32 v114, s1, s2, v114
	s_wait_alu 0xf1ff
	v_add_co_ci_u32_e64 v115, s1, s3, v115, s1
	v_cmp_gt_u16_e64 s1, 26, v132
	global_load_b128 v[120:123], v[114:115], off offset:832
	s_wait_loadcnt_dscnt 0x15
	v_mul_f64_e32 v[118:119], v[106:107], v[122:123]
	scratch_store_b128 off, v[120:123], off offset:584 ; 16-byte Folded Spill
	v_fma_f64 v[118:119], v[104:105], v[120:121], -v[118:119]
	v_mul_f64_e32 v[104:105], v[104:105], v[122:123]
	s_delay_alu instid0(VALU_DEP_1)
	v_fma_f64 v[104:105], v[106:107], v[120:121], v[104:105]
	global_load_b128 v[120:123], v[114:115], off offset:848
	s_wait_loadcnt_dscnt 0x13
	v_mul_f64_e32 v[106:107], v[102:103], v[122:123]
	scratch_store_b128 off, v[120:123], off offset:852 ; 16-byte Folded Spill
	v_fma_f64 v[106:107], v[100:101], v[120:121], -v[106:107]
	v_mul_f64_e32 v[100:101], v[100:101], v[122:123]
	s_delay_alu instid0(VALU_DEP_1)
	v_fma_f64 v[100:101], v[102:103], v[120:121], v[100:101]
	;; [unrolled: 8-line block ×3, first 2 shown]
	global_load_b128 v[120:123], v[114:115], off offset:1264
	s_wait_loadcnt_dscnt 0xd
	v_mul_f64_e32 v[98:99], v[94:95], v[122:123]
	scratch_store_b128 off, v[120:123], off offset:836 ; 16-byte Folded Spill
	v_fma_f64 v[98:99], v[92:93], v[120:121], -v[98:99]
	v_mul_f64_e32 v[92:93], v[92:93], v[122:123]
	s_delay_alu instid0(VALU_DEP_1) | instskip(SKIP_4) | instid1(VALU_DEP_2)
	v_fma_f64 v[92:93], v[94:95], v[120:121], v[92:93]
	v_add_co_u32 v94, s8, 0xffffffe6, v132
	s_wait_alu 0xf1ff
	v_add_co_ci_u32_e64 v95, null, 0, -1, s8
	s_mov_b32 s8, 0xe8584caa
	v_cndmask_b32_e64 v114, v94, v129, s1
	s_mov_b32 s9, 0x3febb67a
	s_delay_alu instid0(VALU_DEP_2) | instskip(SKIP_2) | instid1(VALU_DEP_1)
	v_cndmask_b32_e64 v115, v95, v130, s1
	s_wait_alu 0xfffe
	s_mov_b32 s14, s8
	v_lshlrev_b64_e32 v[94:95], 5, v[114:115]
	s_delay_alu instid0(VALU_DEP_1) | instskip(SKIP_1) | instid1(VALU_DEP_2)
	v_add_co_u32 v94, s1, s2, v94
	s_wait_alu 0xf1ff
	v_add_co_ci_u32_e64 v95, s1, s3, v95, s1
	global_load_b128 v[122:125], v[94:95], off offset:832
	s_wait_loadcnt 0x0
	v_mul_f64_e32 v[120:121], v[90:91], v[124:125]
	scratch_store_b128 off, v[122:125], off offset:868 ; 16-byte Folded Spill
	v_fma_f64 v[120:121], v[88:89], v[122:123], -v[120:121]
	v_mul_f64_e32 v[88:89], v[88:89], v[124:125]
	s_delay_alu instid0(VALU_DEP_1)
	v_fma_f64 v[88:89], v[90:91], v[122:123], v[88:89]
	global_load_b128 v[122:125], v[94:95], off offset:848
	s_wait_loadcnt 0x0
	v_mul_f64_e32 v[90:91], v[86:87], v[124:125]
	scratch_store_b128 off, v[122:125], off offset:916 ; 16-byte Folded Spill
	v_fma_f64 v[90:91], v[84:85], v[122:123], -v[90:91]
	v_mul_f64_e32 v[84:85], v[84:85], v[124:125]
	s_delay_alu instid0(VALU_DEP_1) | instskip(SKIP_1) | instid1(VALU_DEP_1)
	v_fma_f64 v[84:85], v[86:87], v[122:123], v[84:85]
	v_mul_lo_u16 v86, 0xfd, v116
	v_lshrrev_b16 v131, 14, v86
	s_delay_alu instid0(VALU_DEP_1) | instskip(NEXT) | instid1(VALU_DEP_1)
	v_mul_lo_u16 v86, 0x41, v131
	v_sub_nc_u16 v86, v108, v86
	s_delay_alu instid0(VALU_DEP_1) | instskip(NEXT) | instid1(VALU_DEP_1)
	v_and_b32_e32 v133, 0xff, v86
	v_lshlrev_b32_e32 v94, 5, v133
	global_load_b128 v[122:125], v94, s[2:3] offset:832
	s_wait_loadcnt 0x0
	v_mul_f64_e32 v[86:87], v[82:83], v[124:125]
	scratch_store_b128 off, v[122:125], off offset:884 ; 16-byte Folded Spill
	v_fma_f64 v[86:87], v[80:81], v[122:123], -v[86:87]
	v_mul_f64_e32 v[80:81], v[80:81], v[124:125]
	s_delay_alu instid0(VALU_DEP_1)
	v_fma_f64 v[80:81], v[82:83], v[122:123], v[80:81]
	global_load_b128 v[122:125], v94, s[2:3] offset:848
	s_wait_loadcnt_dscnt 0xc
	v_mul_f64_e32 v[82:83], v[78:79], v[124:125]
	scratch_store_b128 off, v[122:125], off offset:900 ; 16-byte Folded Spill
	v_fma_f64 v[82:83], v[76:77], v[122:123], -v[82:83]
	v_mul_f64_e32 v[76:77], v[76:77], v[124:125]
	s_delay_alu instid0(VALU_DEP_1) | instskip(SKIP_1) | instid1(VALU_DEP_1)
	v_fma_f64 v[76:77], v[78:79], v[122:123], v[76:77]
	v_mul_lo_u16 v78, 0xfd, v117
	v_lshrrev_b16 v78, 14, v78
	s_delay_alu instid0(VALU_DEP_1) | instskip(NEXT) | instid1(VALU_DEP_1)
	v_mul_lo_u16 v78, 0x41, v78
	v_sub_nc_u16 v78, v110, v78
	s_delay_alu instid0(VALU_DEP_1) | instskip(NEXT) | instid1(VALU_DEP_1)
	v_and_b32_e32 v156, 0xff, v78
	v_lshlrev_b32_e32 v115, 5, v156
	global_load_b128 v[122:125], v115, s[2:3] offset:832
	s_wait_loadcnt_dscnt 0x9
	v_mul_f64_e32 v[78:79], v[74:75], v[124:125]
	scratch_store_b128 off, v[122:125], off offset:932 ; 16-byte Folded Spill
	v_fma_f64 v[78:79], v[72:73], v[122:123], -v[78:79]
	v_mul_f64_e32 v[72:73], v[72:73], v[124:125]
	s_delay_alu instid0(VALU_DEP_1)
	v_fma_f64 v[94:95], v[74:75], v[122:123], v[72:73]
	global_load_b128 v[122:125], v115, s[2:3] offset:848
	s_wait_loadcnt_dscnt 0x7
	v_mul_f64_e32 v[72:73], v[70:71], v[124:125]
	scratch_store_b128 off, v[122:125], off offset:948 ; 16-byte Folded Spill
	v_fma_f64 v[115:116], v[68:69], v[122:123], -v[72:73]
	v_mul_f64_e32 v[68:69], v[68:69], v[124:125]
	s_delay_alu instid0(VALU_DEP_1) | instskip(SKIP_1) | instid1(VALU_DEP_1)
	v_fma_f64 v[122:123], v[70:71], v[122:123], v[68:69]
	v_add_nc_u16 v68, v132, 0xc3
	v_and_b32_e32 v69, 0xff, v68
	s_delay_alu instid0(VALU_DEP_1) | instskip(NEXT) | instid1(VALU_DEP_1)
	v_mul_lo_u16 v69, 0xfd, v69
	v_lshrrev_b16 v69, 14, v69
	s_delay_alu instid0(VALU_DEP_1) | instskip(NEXT) | instid1(VALU_DEP_1)
	v_mul_lo_u16 v69, 0x41, v69
	v_sub_nc_u16 v68, v68, v69
	s_delay_alu instid0(VALU_DEP_1) | instskip(NEXT) | instid1(VALU_DEP_1)
	v_and_b32_e32 v157, 0xff, v68
	v_lshlrev_b32_e32 v70, 5, v157
	global_load_b128 v[71:74], v70, s[2:3] offset:832
	s_wait_loadcnt 0x0
	v_mul_f64_e32 v[68:69], v[66:67], v[73:74]
	s_delay_alu instid0(VALU_DEP_1) | instskip(SKIP_1) | instid1(VALU_DEP_1)
	v_fma_f64 v[124:125], v[64:65], v[71:72], -v[68:69]
	v_mul_f64_e32 v[64:65], v[64:65], v[73:74]
	v_fma_f64 v[126:127], v[66:67], v[71:72], v[64:65]
	global_load_b128 v[66:69], v70, s[2:3] offset:848
	scratch_store_b128 off, v[71:74], off offset:964 ; 16-byte Folded Spill
	v_add_f64_e64 v[70:71], v[80:81], -v[76:77]
	v_add_f64_e64 v[74:75], v[86:87], -v[82:83]
	s_wait_loadcnt 0x0
	scratch_store_b128 off, v[66:69], off offset:980 ; 16-byte Folded Spill
	s_wait_dscnt 0x6
	v_mul_f64_e32 v[64:65], v[62:63], v[68:69]
	s_delay_alu instid0(VALU_DEP_1) | instskip(SKIP_1) | instid1(VALU_DEP_1)
	v_fma_f64 v[136:137], v[60:61], v[66:67], -v[64:65]
	v_mul_f64_e32 v[60:61], v[60:61], v[68:69]
	v_fma_f64 v[138:139], v[62:63], v[66:67], v[60:61]
	v_add_co_u32 v60, null, 0xea, v132
	s_delay_alu instid0(VALU_DEP_1) | instskip(NEXT) | instid1(VALU_DEP_1)
	v_and_b32_e32 v61, 0xffff, v60
	v_mul_u32_u24_e32 v61, 0xfc1, v61
	s_delay_alu instid0(VALU_DEP_1) | instskip(NEXT) | instid1(VALU_DEP_1)
	v_lshrrev_b32_e32 v158, 18, v61
	v_mul_lo_u16 v61, 0x41, v158
	s_delay_alu instid0(VALU_DEP_1) | instskip(NEXT) | instid1(VALU_DEP_1)
	v_sub_nc_u16 v159, v60, v61
	v_lshlrev_b16 v60, 5, v159
	s_delay_alu instid0(VALU_DEP_1) | instskip(NEXT) | instid1(VALU_DEP_1)
	v_and_b32_e32 v60, 0xffff, v60
	v_add_co_u32 v60, s1, s2, v60
	s_wait_alu 0xf1ff
	v_add_co_ci_u32_e64 v61, null, s3, 0, s1
	global_load_b128 v[64:67], v[60:61], off offset:832
	s_wait_loadcnt_dscnt 0x3
	v_mul_f64_e32 v[62:63], v[58:59], v[66:67]
	s_delay_alu instid0(VALU_DEP_1) | instskip(SKIP_1) | instid1(VALU_DEP_1)
	v_fma_f64 v[140:141], v[56:57], v[64:65], -v[62:63]
	v_mul_f64_e32 v[56:57], v[56:57], v[66:67]
	v_fma_f64 v[142:143], v[58:59], v[64:65], v[56:57]
	global_load_b128 v[58:61], v[60:61], off offset:848
	scratch_store_b128 off, v[64:67], off offset:996 ; 16-byte Folded Spill
	v_add_f64_e64 v[66:67], v[120:121], -v[90:91]
	s_wait_loadcnt 0x0
	scratch_store_b128 off, v[58:61], off offset:1012 ; 16-byte Folded Spill
	s_wait_dscnt 0x1
	v_mul_f64_e32 v[56:57], v[54:55], v[60:61]
	s_delay_alu instid0(VALU_DEP_1) | instskip(SKIP_2) | instid1(VALU_DEP_2)
	v_fma_f64 v[144:145], v[52:53], v[58:59], -v[56:57]
	v_mul_f64_e32 v[52:53], v[52:53], v[60:61]
	v_add_f64_e64 v[60:61], v[96:97], -v[92:93]
	v_fma_f64 v[146:147], v[54:55], v[58:59], v[52:53]
	v_add_nc_u32_e32 v52, 0x111, v132
	s_delay_alu instid0(VALU_DEP_1) | instskip(NEXT) | instid1(VALU_DEP_1)
	v_and_b32_e32 v53, 0xffff, v52
	v_mul_u32_u24_e32 v53, 0xfc1, v53
	s_delay_alu instid0(VALU_DEP_1) | instskip(NEXT) | instid1(VALU_DEP_1)
	v_lshrrev_b32_e32 v53, 18, v53
	v_mul_lo_u16 v53, 0x41, v53
	s_delay_alu instid0(VALU_DEP_1) | instskip(NEXT) | instid1(VALU_DEP_1)
	v_sub_nc_u16 v160, v52, v53
	v_lshlrev_b16 v52, 5, v160
	s_delay_alu instid0(VALU_DEP_1) | instskip(NEXT) | instid1(VALU_DEP_1)
	v_and_b32_e32 v52, 0xffff, v52
	v_add_co_u32 v52, s1, s2, v52
	s_wait_alu 0xf1ff
	v_add_co_ci_u32_e64 v53, null, s3, 0, s1
	global_load_b128 v[56:59], v[52:53], off offset:832
	s_wait_loadcnt 0x0
	v_mul_f64_e32 v[54:55], v[46:47], v[58:59]
	s_delay_alu instid0(VALU_DEP_1)
	v_fma_f64 v[148:149], v[44:45], v[56:57], -v[54:55]
	global_load_b128 v[52:55], v[52:53], off offset:848
	v_mul_f64_e32 v[44:45], v[44:45], v[58:59]
	scratch_store_b128 off, v[56:59], off offset:1028 ; 16-byte Folded Spill
	v_fma_f64 v[150:151], v[46:47], v[56:57], v[44:45]
	s_wait_loadcnt 0x0
	scratch_store_b128 off, v[52:55], off offset:1044 ; 16-byte Folded Spill
	s_wait_dscnt 0x0
	v_mul_f64_e32 v[44:45], v[42:43], v[54:55]
	s_delay_alu instid0(VALU_DEP_1) | instskip(SKIP_1) | instid1(VALU_DEP_1)
	v_fma_f64 v[152:153], v[40:41], v[52:53], -v[44:45]
	v_mul_f64_e32 v[40:41], v[40:41], v[54:55]
	v_fma_f64 v[154:155], v[42:43], v[52:53], v[40:41]
	v_add_nc_u32_e32 v40, 0x138, v132
	v_add_f64_e64 v[52:53], v[118:119], -v[106:107]
	s_delay_alu instid0(VALU_DEP_2) | instskip(NEXT) | instid1(VALU_DEP_1)
	v_and_b32_e32 v41, 0xffff, v40
	v_mul_u32_u24_e32 v41, 0xfc1, v41
	s_delay_alu instid0(VALU_DEP_1) | instskip(NEXT) | instid1(VALU_DEP_1)
	v_lshrrev_b32_e32 v41, 18, v41
	v_mul_lo_u16 v41, 0x41, v41
	s_delay_alu instid0(VALU_DEP_1) | instskip(NEXT) | instid1(VALU_DEP_1)
	v_sub_nc_u16 v161, v40, v41
	v_lshlrev_b16 v40, 5, v161
	s_delay_alu instid0(VALU_DEP_1) | instskip(NEXT) | instid1(VALU_DEP_1)
	v_and_b32_e32 v40, 0xffff, v40
	v_add_co_u32 v42, s1, s2, v40
	s_wait_alu 0xf1ff
	v_add_co_ci_u32_e64 v43, null, s3, 0, s1
	v_cmp_lt_u16_e64 s1, 25, v132
	global_load_b128 v[44:47], v[42:43], off offset:832
	s_wait_loadcnt 0x0
	v_mul_f64_e32 v[40:41], v[193:194], v[46:47]
	v_mul_f64_e32 v[0:1], v[191:192], v[46:47]
	scratch_store_b128 off, v[44:47], off offset:1200 ; 16-byte Folded Spill
	v_fma_f64 v[40:41], v[191:192], v[44:45], -v[40:41]
	v_fma_f64 v[2:3], v[193:194], v[44:45], v[0:1]
	global_load_b128 v[44:47], v[42:43], off offset:848
	s_wait_loadcnt 0x0
	v_mul_f64_e32 v[0:1], v[50:51], v[46:47]
	v_mul_f64_e32 v[42:43], v[48:49], v[46:47]
	scratch_store_b128 off, v[44:47], off offset:1216 ; 16-byte Folded Spill
	global_wb scope:SCOPE_SE
	s_wait_storecnt 0x0
	s_barrier_signal -1
	s_barrier_wait -1
	global_inv scope:SCOPE_SE
	v_fma_f64 v[0:1], v[48:49], v[44:45], -v[0:1]
	v_fma_f64 v[42:43], v[50:51], v[44:45], v[42:43]
	v_add_f64_e32 v[44:45], v[118:119], v[106:107]
	v_add_f64_e64 v[48:49], v[104:105], -v[100:101]
	s_delay_alu instid0(VALU_DEP_2) | instskip(SKIP_3) | instid1(VALU_DEP_3)
	v_fma_f64 v[46:47], v[44:45], -0.5, v[36:37]
	v_add_f64_e32 v[44:45], v[104:105], v[100:101]
	v_add_f64_e32 v[36:37], v[36:37], v[118:119]
	v_add_f64_e64 v[117:118], v[2:3], -v[42:43]
	v_fma_f64 v[50:51], v[44:45], -0.5, v[38:39]
	v_fma_f64 v[44:45], v[48:49], s[8:9], v[46:47]
	s_wait_alu 0xfffe
	v_fma_f64 v[48:49], v[48:49], s[14:15], v[46:47]
	v_add_f64_e32 v[38:39], v[38:39], v[104:105]
	v_add_f64_e32 v[36:37], v[36:37], v[106:107]
	v_add_f64_e64 v[106:107], v[148:149], -v[152:153]
	v_fma_f64 v[46:47], v[52:53], s[14:15], v[50:51]
	v_fma_f64 v[50:51], v[52:53], s[8:9], v[50:51]
	v_add_f64_e32 v[52:53], v[102:103], v[98:99]
	v_add_f64_e32 v[38:39], v[38:39], v[100:101]
	s_delay_alu instid0(VALU_DEP_2)
	v_fma_f64 v[58:59], v[52:53], -0.5, v[32:33]
	v_add_f64_e32 v[52:53], v[96:97], v[92:93]
	v_add_f64_e32 v[32:33], v[32:33], v[102:103]
	ds_store_b128 v162, v[36:39]
	v_add_f64_e64 v[38:39], v[88:89], -v[84:85]
	v_fma_f64 v[56:57], v[60:61], s[8:9], v[58:59]
	v_fma_f64 v[62:63], v[52:53], -0.5, v[34:35]
	v_add_f64_e32 v[52:53], v[32:33], v[98:99]
	v_add_f64_e64 v[32:33], v[102:103], -v[98:99]
	v_add_f64_e32 v[34:35], v[34:35], v[96:97]
	v_fma_f64 v[60:61], v[60:61], s[14:15], v[58:59]
	v_add_f64_e64 v[98:99], v[140:141], -v[144:145]
	v_add_f64_e64 v[102:103], v[150:151], -v[154:155]
	v_fma_f64 v[58:59], v[32:33], s[14:15], v[62:63]
	v_fma_f64 v[62:63], v[32:33], s[8:9], v[62:63]
	v_add_f64_e32 v[32:33], v[120:121], v[90:91]
	v_add_f64_e32 v[54:55], v[34:35], v[92:93]
	;; [unrolled: 1-line block ×3, first 2 shown]
	s_delay_alu instid0(VALU_DEP_3) | instskip(SKIP_1) | instid1(VALU_DEP_3)
	v_fma_f64 v[32:33], v[32:33], -0.5, v[28:29]
	v_add_f64_e32 v[28:29], v[28:29], v[120:121]
	v_fma_f64 v[34:35], v[34:35], -0.5, v[30:31]
	v_add_f64_e32 v[30:31], v[30:31], v[88:89]
	s_delay_alu instid0(VALU_DEP_4)
	v_fma_f64 v[36:37], v[38:39], s[8:9], v[32:33]
	v_fma_f64 v[64:65], v[38:39], s[14:15], v[32:33]
	v_add_f64_e32 v[32:33], v[86:87], v[82:83]
	v_fma_f64 v[38:39], v[66:67], s[14:15], v[34:35]
	v_fma_f64 v[66:67], v[66:67], s[8:9], v[34:35]
	v_add_f64_e32 v[34:35], v[80:81], v[76:77]
	v_add_f64_e32 v[30:31], v[30:31], v[84:85]
	;; [unrolled: 1-line block ×3, first 2 shown]
	v_add_f64_e64 v[90:91], v[124:125], -v[136:137]
	v_fma_f64 v[32:33], v[32:33], -0.5, v[24:25]
	v_add_f64_e32 v[24:25], v[24:25], v[86:87]
	v_add_f64_e64 v[86:87], v[126:127], -v[138:139]
	v_fma_f64 v[34:35], v[34:35], -0.5, v[26:27]
	v_add_f64_e32 v[26:27], v[26:27], v[80:81]
	v_add_f64_e64 v[80:81], v[94:95], -v[122:123]
	v_fma_f64 v[68:69], v[70:71], s[8:9], v[32:33]
	v_fma_f64 v[72:73], v[70:71], s[14:15], v[32:33]
	v_add_f64_e32 v[32:33], v[78:79], v[115:116]
	v_fma_f64 v[70:71], v[74:75], s[14:15], v[34:35]
	v_fma_f64 v[74:75], v[74:75], s[8:9], v[34:35]
	v_add_f64_e32 v[34:35], v[94:95], v[122:123]
	v_add_f64_e32 v[26:27], v[26:27], v[76:77]
	;; [unrolled: 1-line block ×3, first 2 shown]
	v_add_f64_e64 v[82:83], v[78:79], -v[115:116]
	v_fma_f64 v[32:33], v[32:33], -0.5, v[20:21]
	v_add_f64_e32 v[20:21], v[20:21], v[78:79]
	v_fma_f64 v[34:35], v[34:35], -0.5, v[22:23]
	v_add_f64_e32 v[22:23], v[22:23], v[94:95]
	v_add_f64_e64 v[94:95], v[142:143], -v[146:147]
	v_fma_f64 v[76:77], v[80:81], s[8:9], v[32:33]
	v_fma_f64 v[80:81], v[80:81], s[14:15], v[32:33]
	v_add_f64_e32 v[32:33], v[124:125], v[136:137]
	v_fma_f64 v[78:79], v[82:83], s[14:15], v[34:35]
	v_fma_f64 v[82:83], v[82:83], s[8:9], v[34:35]
	v_add_f64_e32 v[34:35], v[126:127], v[138:139]
	v_add_f64_e32 v[20:21], v[20:21], v[115:116]
	v_add_f64_e32 v[22:23], v[22:23], v[122:123]
	v_fma_f64 v[32:33], v[32:33], -0.5, v[16:17]
	v_add_f64_e32 v[16:17], v[16:17], v[124:125]
	v_fma_f64 v[34:35], v[34:35], -0.5, v[18:19]
	v_add_f64_e32 v[18:19], v[18:19], v[126:127]
	s_delay_alu instid0(VALU_DEP_4)
	v_fma_f64 v[84:85], v[86:87], s[8:9], v[32:33]
	v_fma_f64 v[88:89], v[86:87], s[14:15], v[32:33]
	v_add_f64_e32 v[32:33], v[140:141], v[144:145]
	v_fma_f64 v[86:87], v[90:91], s[14:15], v[34:35]
	v_fma_f64 v[90:91], v[90:91], s[8:9], v[34:35]
	v_add_f64_e32 v[34:35], v[142:143], v[146:147]
	v_add_f64_e32 v[18:19], v[18:19], v[138:139]
	v_add_f64_e32 v[16:17], v[16:17], v[136:137]
	v_fma_f64 v[32:33], v[32:33], -0.5, v[12:13]
	v_add_f64_e32 v[12:13], v[12:13], v[140:141]
	v_fma_f64 v[34:35], v[34:35], -0.5, v[14:15]
	v_add_f64_e32 v[14:15], v[14:15], v[142:143]
	s_delay_alu instid0(VALU_DEP_4)
	;; [unrolled: 13-line block ×3, first 2 shown]
	v_fma_f64 v[100:101], v[102:103], s[8:9], v[32:33]
	v_fma_f64 v[104:105], v[102:103], s[14:15], v[32:33]
	v_add_f64_e32 v[32:33], v[40:41], v[0:1]
	v_fma_f64 v[102:103], v[106:107], s[14:15], v[34:35]
	v_fma_f64 v[106:107], v[106:107], s[8:9], v[34:35]
	v_add_f64_e32 v[10:11], v[10:11], v[154:155]
	v_add_f64_e32 v[8:9], v[8:9], v[152:153]
	v_fma_f64 v[34:35], v[32:33], -0.5, v[4:5]
	v_add_f64_e32 v[32:33], v[2:3], v[42:43]
	s_delay_alu instid0(VALU_DEP_2) | instskip(NEXT) | instid1(VALU_DEP_2)
	v_fma_f64 v[119:120], v[117:118], s[14:15], v[34:35]
	v_fma_f64 v[115:116], v[32:33], -0.5, v[6:7]
	v_fma_f64 v[32:33], v[117:118], s[8:9], v[34:35]
	v_add_f64_e64 v[117:118], v[40:41], -v[0:1]
	s_delay_alu instid0(VALU_DEP_1)
	v_fma_f64 v[121:122], v[117:118], s[8:9], v[115:116]
	v_fma_f64 v[34:35], v[117:118], s[14:15], v[115:116]
	scratch_store_b128 off, v[119:122], off offset:20 ; 16-byte Folded Spill
	ds_store_b128 v162, v[44:47] offset:1040
	ds_store_b128 v162, v[48:51] offset:2080
	s_wait_alu 0xf1ff
	v_cndmask_b32_e64 v44, 0, 0xc3, s1
	v_lshlrev_b32_e32 v45, 4, v135
	s_delay_alu instid0(VALU_DEP_2) | instskip(NEXT) | instid1(VALU_DEP_1)
	v_add_nc_u32_e32 v44, v114, v44
	v_lshl_add_u32 v44, v44, 4, v45
	ds_store_b128 v44, v[28:31]
	ds_store_b128 v44, v[36:39] offset:1040
	v_and_b32_e32 v28, 0xffff, v131
	scratch_store_b32 off, v44, off offset:816 ; 4-byte Folded Spill
	ds_store_b128 v44, v[64:67] offset:2080
	ds_store_b128 v162, v[52:55] offset:3328
	;; [unrolled: 1-line block ×4, first 2 shown]
	v_mul_u32_u24_e32 v28, 0xc3, v28
	s_delay_alu instid0(VALU_DEP_1) | instskip(NEXT) | instid1(VALU_DEP_1)
	v_add_nc_u32_e32 v28, v28, v133
	v_lshl_add_u32 v28, v28, 4, v45
	ds_store_b128 v28, v[24:27]
	ds_store_b128 v28, v[68:71] offset:1040
	v_lshl_add_u32 v24, v156, 4, v45
	scratch_store_b32 off, v28, off offset:764 ; 4-byte Folded Spill
	ds_store_b128 v28, v[72:75] offset:2080
	ds_store_b128 v24, v[20:23] offset:6240
	;; [unrolled: 1-line block ×3, first 2 shown]
	v_lshl_add_u32 v20, v157, 4, v45
	scratch_store_b32 off, v24, off offset:712 ; 4-byte Folded Spill
	ds_store_b128 v24, v[80:83] offset:8320
	ds_store_b128 v20, v[16:19] offset:9360
	;; [unrolled: 1-line block ×3, first 2 shown]
	v_mad_u16 v16, 0xc3, v158, v159
	scratch_store_b32 off, v20, off offset:676 ; 4-byte Folded Spill
	ds_store_b128 v20, v[88:91] offset:11440
	v_and_b32_e32 v16, 0xffff, v16
	s_delay_alu instid0(VALU_DEP_1)
	v_lshl_add_u32 v16, v16, 4, v45
	ds_store_b128 v16, v[12:15]
	ds_store_b128 v16, v[92:95] offset:1040
	v_and_b32_e32 v12, 0xffff, v160
	scratch_store_b32 off, v16, off offset:672 ; 4-byte Folded Spill
	ds_store_b128 v16, v[96:99] offset:2080
	v_lshl_add_u32 v12, v12, 4, v45
	ds_store_b128 v12, v[8:11] offset:12480
	ds_store_b128 v12, v[100:103] offset:13520
	v_and_b32_e32 v8, 0xffff, v161
	scratch_store_b32 off, v12, off offset:652 ; 4-byte Folded Spill
	ds_store_b128 v12, v[104:107] offset:14560
	scratch_store_b32 off, v8, off offset:600 ; 4-byte Folded Spill
	s_and_saveexec_b32 s1, s0
	s_cbranch_execz .LBB0_11
; %bb.10:
	v_add_f64_e32 v[4:5], v[4:5], v[40:41]
	v_add_f64_e32 v[2:3], v[6:7], v[2:3]
	s_delay_alu instid0(VALU_DEP_2) | instskip(SKIP_4) | instid1(VALU_DEP_1)
	v_add_f64_e32 v[0:1], v[4:5], v[0:1]
	scratch_load_b32 v5, off, off offset:600 ; 4-byte Folded Reload
	v_add_f64_e32 v[2:3], v[2:3], v[42:43]
	v_lshlrev_b32_e32 v4, 4, v135
	s_wait_loadcnt 0x0
	v_lshl_add_u32 v4, v5, 4, v4
	ds_store_b128 v4, v[0:3] offset:12480
	ds_store_b128 v4, v[32:35] offset:13520
	scratch_load_b128 v[0:3], off, off offset:20 ; 16-byte Folded Reload
	s_wait_loadcnt 0x0
	ds_store_b128 v4, v[0:3] offset:14560
.LBB0_11:
	s_wait_alu 0xfffe
	s_or_b32 exec_lo, exec_lo, s1
	scratch_load_b64 v[0:1], off, off       ; 8-byte Folded Reload
	s_wait_loadcnt 0x0
	v_lshlrev_b32_e32 v1, 6, v129
	global_wb scope:SCOPE_SE
	s_wait_storecnt_dscnt 0x0
	s_barrier_signal -1
	s_barrier_wait -1
	global_inv scope:SCOPE_SE
	s_mov_b32 s9, 0xbfee6f0e
	s_mov_b32 s14, 0x4755a5e
	;; [unrolled: 1-line block ×3, first 2 shown]
	s_wait_alu 0xfffe
	s_mov_b32 s16, s14
	v_lshlrev_b32_e32 v0, 6, v0
	s_clause 0x7
	global_load_b128 v[38:41], v0, s[2:3] offset:2912
	global_load_b128 v[58:61], v1, s[2:3] offset:2912
	;; [unrolled: 1-line block ×8, first 2 shown]
	v_lshlrev_b64_e32 v[0:1], 6, v[112:113]
	s_delay_alu instid0(VALU_DEP_1) | instskip(SKIP_1) | instid1(VALU_DEP_2)
	v_add_co_u32 v0, s1, s2, v0
	s_wait_alu 0xf1ff
	v_add_co_ci_u32_e64 v1, s1, s3, v1, s1
	s_clause 0x3
	global_load_b128 v[86:89], v[0:1], off offset:2912
	global_load_b128 v[70:73], v[0:1], off offset:2928
	global_load_b128 v[78:81], v[0:1], off offset:2944
	global_load_b128 v[74:77], v[0:1], off offset:2960
	ds_load_b128 v[0:3], v162 offset:3120
	ds_load_b128 v[4:7], v162 offset:3744
	;; [unrolled: 1-line block ×7, first 2 shown]
	s_wait_loadcnt_dscnt 0xb06
	v_mul_f64_e32 v[28:29], v[2:3], v[40:41]
	v_mul_f64_e32 v[30:31], v[0:1], v[40:41]
	s_wait_loadcnt_dscnt 0xa05
	v_mul_f64_e32 v[36:37], v[6:7], v[60:61]
	v_mul_f64_e32 v[44:45], v[4:5], v[60:61]
	;; [unrolled: 3-line block ×3, first 2 shown]
	scratch_store_b128 off, v[38:41], off offset:696 ; 16-byte Folded Spill
	s_wait_loadcnt 0x6
	scratch_store_b128 off, v[82:85], off offset:680 ; 16-byte Folded Spill
	v_mul_f64_e32 v[46:47], v[10:11], v[100:101]
	v_mul_f64_e32 v[48:49], v[8:9], v[100:101]
	s_wait_dscnt 0x2
	v_mul_f64_e32 v[54:55], v[18:19], v[92:93]
	v_mul_f64_e32 v[56:57], v[16:17], v[92:93]
	s_clause 0x1
	scratch_store_b128 off, v[58:61], off offset:656
	scratch_store_b128 off, v[64:67], off offset:768
	s_wait_loadcnt 0x4
	s_clause 0x3
	scratch_store_b128 off, v[94:97], off offset:748
	scratch_store_b128 off, v[90:93], off offset:732
	;; [unrolled: 1-line block ×4, first 2 shown]
	s_wait_dscnt 0x0
	v_mul_f64_e32 v[68:69], v[24:25], v[104:105]
	s_wait_loadcnt 0x2
	s_clause 0x1
	scratch_store_b128 off, v[70:73], off offset:604
	scratch_store_b128 off, v[86:89], off offset:716
	s_wait_loadcnt 0x0
	s_clause 0x1
	scratch_store_b128 off, v[74:77], off offset:620
	scratch_store_b128 off, v[78:81], off offset:636
	v_fma_f64 v[42:43], v[0:1], v[38:39], -v[28:29]
	v_fma_f64 v[40:41], v[2:3], v[38:39], v[30:31]
	ds_load_b128 v[0:3], v162 offset:13104
	v_fma_f64 v[38:39], v[4:5], v[58:59], -v[36:37]
	v_fma_f64 v[36:37], v[6:7], v[58:59], v[44:45]
	v_fma_f64 v[62:63], v[12:13], v[64:65], -v[50:51]
	v_fma_f64 v[60:61], v[14:15], v[64:65], v[52:53]
	ds_load_b128 v[4:7], v162 offset:4368
	v_fma_f64 v[46:47], v[8:9], v[98:99], -v[46:47]
	v_fma_f64 v[44:45], v[10:11], v[98:99], v[48:49]
	ds_load_b128 v[8:11], v162 offset:7488
	v_fma_f64 v[64:65], v[16:17], v[90:91], -v[54:55]
	v_fma_f64 v[66:67], v[18:19], v[90:91], v[56:57]
	v_mul_f64_e32 v[58:59], v[26:27], v[104:105]
	v_mul_f64_e32 v[28:29], v[22:23], v[84:85]
	v_mul_f64_e32 v[30:31], v[20:21], v[84:85]
	v_fma_f64 v[112:113], v[26:27], v[102:103], v[68:69]
	s_wait_dscnt 0x2
	v_mul_f64_e32 v[12:13], v[2:3], v[96:97]
	v_mul_f64_e32 v[14:15], v[0:1], v[96:97]
	s_wait_dscnt 0x1
	v_mul_f64_e32 v[16:17], v[6:7], v[88:89]
	v_mul_f64_e32 v[18:19], v[4:5], v[88:89]
	v_add_f64_e32 v[120:121], v[46:47], v[62:63]
	v_add_f64_e64 v[140:141], v[44:45], -v[60:61]
	v_add_f64_e64 v[144:145], v[46:47], -v[62:63]
	;; [unrolled: 1-line block ×4, first 2 shown]
	v_fma_f64 v[114:115], v[24:25], v[102:103], -v[58:59]
	v_fma_f64 v[50:51], v[20:21], v[82:83], -v[28:29]
	s_wait_dscnt 0x0
	v_mul_f64_e32 v[20:21], v[10:11], v[72:73]
	v_fma_f64 v[48:49], v[22:23], v[82:83], v[30:31]
	v_fma_f64 v[118:119], v[0:1], v[94:95], -v[12:13]
	v_fma_f64 v[116:117], v[2:3], v[94:95], v[14:15]
	ds_load_b128 v[0:3], v162 offset:10608
	v_mul_f64_e32 v[12:13], v[8:9], v[72:73]
	v_fma_f64 v[96:97], v[4:5], v[86:87], -v[16:17]
	v_fma_f64 v[92:93], v[6:7], v[86:87], v[18:19]
	s_wait_dscnt 0x0
	v_mul_f64_e32 v[4:5], v[2:3], v[80:81]
	v_mul_f64_e32 v[6:7], v[0:1], v[80:81]
	v_fma_f64 v[102:103], v[8:9], v[70:71], -v[20:21]
	v_fma_f64 v[100:101], v[10:11], v[70:71], v[12:13]
	s_delay_alu instid0(VALU_DEP_4) | instskip(NEXT) | instid1(VALU_DEP_4)
	v_fma_f64 v[98:99], v[0:1], v[78:79], -v[4:5]
	v_fma_f64 v[94:95], v[2:3], v[78:79], v[6:7]
	ds_load_b128 v[0:3], v162 offset:13728
	s_wait_dscnt 0x0
	v_mul_f64_e32 v[4:5], v[2:3], v[76:77]
	s_delay_alu instid0(VALU_DEP_1) | instskip(SKIP_1) | instid1(VALU_DEP_1)
	v_fma_f64 v[104:105], v[0:1], v[74:75], -v[4:5]
	v_mul_f64_e32 v[0:1], v[0:1], v[76:77]
	v_fma_f64 v[106:107], v[2:3], v[74:75], v[0:1]
	v_lshlrev_b64_e32 v[0:1], 6, v[108:109]
	s_delay_alu instid0(VALU_DEP_1) | instskip(SKIP_1) | instid1(VALU_DEP_2)
	v_add_co_u32 v16, s1, s2, v0
	s_wait_alu 0xf1ff
	v_add_co_ci_u32_e64 v17, s1, s3, v1, s1
	ds_load_b128 v[0:3], v162 offset:4992
	global_load_b128 v[4:7], v[16:17], off offset:2912
	s_wait_loadcnt_dscnt 0x0
	v_mul_f64_e32 v[8:9], v[2:3], v[6:7]
	scratch_store_b128 off, v[4:7], off offset:1076 ; 16-byte Folded Spill
	v_fma_f64 v[70:71], v[0:1], v[4:5], -v[8:9]
	v_mul_f64_e32 v[0:1], v[0:1], v[6:7]
	s_delay_alu instid0(VALU_DEP_1)
	v_fma_f64 v[68:69], v[2:3], v[4:5], v[0:1]
	global_load_b128 v[4:7], v[16:17], off offset:2928
	ds_load_b128 v[0:3], v162 offset:8112
	s_wait_loadcnt_dscnt 0x0
	v_mul_f64_e32 v[12:13], v[2:3], v[6:7]
	scratch_store_b128 off, v[4:7], off offset:1092 ; 16-byte Folded Spill
	v_fma_f64 v[72:73], v[0:1], v[4:5], -v[12:13]
	v_mul_f64_e32 v[0:1], v[0:1], v[6:7]
	s_delay_alu instid0(VALU_DEP_1)
	v_fma_f64 v[74:75], v[2:3], v[4:5], v[0:1]
	global_load_b128 v[4:7], v[16:17], off offset:2944
	ds_load_b128 v[0:3], v162 offset:11232
	;; [unrolled: 9-line block ×3, first 2 shown]
	s_wait_loadcnt_dscnt 0x0
	v_mul_f64_e32 v[20:21], v[2:3], v[6:7]
	scratch_store_b128 off, v[4:7], off offset:1124 ; 16-byte Folded Spill
	v_fma_f64 v[88:89], v[0:1], v[4:5], -v[20:21]
	v_mul_f64_e32 v[0:1], v[0:1], v[6:7]
	s_delay_alu instid0(VALU_DEP_1)
	v_fma_f64 v[90:91], v[2:3], v[4:5], v[0:1]
	v_lshlrev_b64_e32 v[0:1], 6, v[110:111]
	ds_load_b128 v[108:111], v162 offset:14976
	v_add_co_u32 v80, s1, s2, v0
	s_wait_alu 0xf1ff
	v_add_co_ci_u32_e64 v81, s1, s3, v1, s1
	ds_load_b128 v[0:3], v162 offset:5616
	s_mov_b32 s2, 0x134454ff
	s_mov_b32 s3, 0x3fee6f0e
	global_load_b128 v[4:7], v[80:81], off offset:2912
	s_wait_alu 0xfffe
	s_mov_b32 s8, s2
	s_wait_loadcnt_dscnt 0x0
	v_mul_f64_e32 v[24:25], v[2:3], v[6:7]
	scratch_store_b128 off, v[4:7], off offset:1140 ; 16-byte Folded Spill
	v_fma_f64 v[54:55], v[0:1], v[4:5], -v[24:25]
	v_mul_f64_e32 v[0:1], v[0:1], v[6:7]
	s_delay_alu instid0(VALU_DEP_1)
	v_fma_f64 v[52:53], v[2:3], v[4:5], v[0:1]
	global_load_b128 v[4:7], v[80:81], off offset:2928
	ds_load_b128 v[0:3], v162 offset:8736
	s_wait_loadcnt_dscnt 0x0
	v_mul_f64_e32 v[28:29], v[2:3], v[6:7]
	scratch_store_b128 off, v[4:7], off offset:1156 ; 16-byte Folded Spill
	v_fma_f64 v[56:57], v[0:1], v[4:5], -v[28:29]
	v_mul_f64_e32 v[0:1], v[0:1], v[6:7]
	s_delay_alu instid0(VALU_DEP_1) | instskip(SKIP_4) | instid1(VALU_DEP_1)
	v_fma_f64 v[58:59], v[2:3], v[4:5], v[0:1]
	global_load_b128 v[4:7], v[80:81], off offset:2944
	ds_load_b128 v[0:3], v162 offset:11856
	s_wait_loadcnt_dscnt 0x0
	v_mul_f64_e32 v[76:77], v[2:3], v[6:7]
	v_fma_f64 v[78:79], v[0:1], v[4:5], -v[76:77]
	v_mul_f64_e32 v[0:1], v[0:1], v[6:7]
	s_delay_alu instid0(VALU_DEP_1)
	v_fma_f64 v[76:77], v[2:3], v[4:5], v[0:1]
	global_load_b128 v[0:3], v[80:81], off offset:2960
	scratch_store_b128 off, v[4:7], off offset:1172 ; 16-byte Folded Spill
	s_wait_loadcnt 0x0
	scratch_store_b128 off, v[0:3], off offset:1060 ; 16-byte Folded Spill
	v_mul_f64_e32 v[80:81], v[110:111], v[2:3]
	v_mul_f64_e32 v[82:83], v[108:109], v[2:3]
	s_delay_alu instid0(VALU_DEP_2) | instskip(NEXT) | instid1(VALU_DEP_2)
	v_fma_f64 v[80:81], v[108:109], v[0:1], -v[80:81]
	v_fma_f64 v[82:83], v[110:111], v[0:1], v[82:83]
	v_add_f64_e64 v[108:109], v[42:43], -v[46:47]
	v_add_f64_e64 v[110:111], v[64:65], -v[62:63]
	s_delay_alu instid0(VALU_DEP_1) | instskip(SKIP_2) | instid1(VALU_DEP_1)
	v_add_f64_e32 v[124:125], v[108:109], v[110:111]
	v_add_f64_e64 v[108:109], v[40:41], -v[44:45]
	v_add_f64_e64 v[110:111], v[66:67], -v[60:61]
	v_add_f64_e32 v[126:127], v[108:109], v[110:111]
	ds_load_b128 v[108:111], v162
	s_wait_dscnt 0x0
	v_fma_f64 v[130:131], v[120:121], -0.5, v[108:109]
	v_add_f64_e32 v[120:121], v[44:45], v[60:61]
	s_delay_alu instid0(VALU_DEP_1) | instskip(NEXT) | instid1(VALU_DEP_3)
	v_fma_f64 v[136:137], v[120:121], -0.5, v[110:111]
	v_fma_f64 v[120:121], v[138:139], s[2:3], v[130:131]
	s_wait_alu 0xfffe
	v_fma_f64 v[130:131], v[138:139], s[8:9], v[130:131]
	s_delay_alu instid0(VALU_DEP_3) | instskip(SKIP_1) | instid1(VALU_DEP_4)
	v_fma_f64 v[122:123], v[142:143], s[8:9], v[136:137]
	v_fma_f64 v[136:137], v[142:143], s[2:3], v[136:137]
	;; [unrolled: 1-line block ×3, first 2 shown]
	s_delay_alu instid0(VALU_DEP_4) | instskip(NEXT) | instid1(VALU_DEP_4)
	v_fma_f64 v[130:131], v[140:141], s[16:17], v[130:131]
	v_fma_f64 v[122:123], v[144:145], s[16:17], v[122:123]
	s_delay_alu instid0(VALU_DEP_4) | instskip(NEXT) | instid1(VALU_DEP_4)
	v_fma_f64 v[136:137], v[144:145], s[14:15], v[136:137]
	v_fma_f64 v[120:121], v[124:125], s[18:19], v[120:121]
	s_delay_alu instid0(VALU_DEP_4) | instskip(SKIP_4) | instid1(VALU_DEP_4)
	v_fma_f64 v[124:125], v[124:125], s[18:19], v[130:131]
	v_add_f64_e32 v[130:131], v[42:43], v[64:65]
	v_fma_f64 v[122:123], v[126:127], s[18:19], v[122:123]
	v_fma_f64 v[126:127], v[126:127], s[18:19], v[136:137]
	v_add_f64_e32 v[136:137], v[40:41], v[66:67]
	v_fma_f64 v[130:131], v[130:131], -0.5, v[108:109]
	v_add_f64_e32 v[108:109], v[108:109], v[42:43]
	v_add_f64_e64 v[42:43], v[46:47], -v[42:43]
	s_delay_alu instid0(VALU_DEP_4) | instskip(SKIP_3) | instid1(VALU_DEP_3)
	v_fma_f64 v[136:137], v[136:137], -0.5, v[110:111]
	v_add_f64_e32 v[110:111], v[110:111], v[40:41]
	v_add_f64_e64 v[40:41], v[44:45], -v[40:41]
	v_add_f64_e32 v[46:47], v[108:109], v[46:47]
	v_add_f64_e32 v[108:109], v[110:111], v[44:45]
	s_delay_alu instid0(VALU_DEP_2) | instskip(SKIP_1) | instid1(VALU_DEP_3)
	v_add_f64_e32 v[44:45], v[46:47], v[62:63]
	v_add_f64_e64 v[62:63], v[62:63], -v[64:65]
	v_add_f64_e32 v[46:47], v[108:109], v[60:61]
	s_delay_alu instid0(VALU_DEP_3)
	v_add_f64_e32 v[108:109], v[44:45], v[64:65]
	v_add_f64_e64 v[44:45], v[60:61], -v[66:67]
	v_fma_f64 v[60:61], v[140:141], s[2:3], v[130:131]
	v_fma_f64 v[64:65], v[144:145], s[2:3], v[136:137]
	v_add_f64_e32 v[42:43], v[42:43], v[62:63]
	v_add_f64_e32 v[110:111], v[46:47], v[66:67]
	v_fma_f64 v[46:47], v[140:141], s[8:9], v[130:131]
	v_fma_f64 v[66:67], v[144:145], s[8:9], v[136:137]
	v_add_f64_e32 v[40:41], v[40:41], v[44:45]
	v_add_f64_e64 v[136:137], v[38:39], -v[118:119]
	s_delay_alu instid0(VALU_DEP_4)
	v_fma_f64 v[44:45], v[138:139], s[14:15], v[46:47]
	v_fma_f64 v[46:47], v[138:139], s[16:17], v[60:61]
	;; [unrolled: 1-line block ×4, first 2 shown]
	v_add_f64_e64 v[64:65], v[36:37], -v[116:117]
	v_add_f64_e64 v[66:67], v[48:49], -v[112:113]
	;; [unrolled: 1-line block ×3, first 2 shown]
	v_fma_f64 v[144:145], v[42:43], s[18:19], v[44:45]
	v_fma_f64 v[152:153], v[42:43], s[18:19], v[46:47]
	;; [unrolled: 1-line block ×4, first 2 shown]
	v_add_f64_e64 v[40:41], v[38:39], -v[50:51]
	v_add_f64_e64 v[42:43], v[118:119], -v[114:115]
	v_add_f64_e32 v[60:61], v[50:51], v[114:115]
	v_add_f64_e32 v[62:63], v[48:49], v[112:113]
	s_delay_alu instid0(VALU_DEP_3) | instskip(SKIP_2) | instid1(VALU_DEP_1)
	v_add_f64_e32 v[44:45], v[40:41], v[42:43]
	v_add_f64_e64 v[40:41], v[36:37], -v[48:49]
	v_add_f64_e64 v[42:43], v[116:117], -v[112:113]
	v_add_f64_e32 v[46:47], v[40:41], v[42:43]
	ds_load_b128 v[40:43], v162 offset:624
	s_wait_dscnt 0x0
	v_fma_f64 v[60:61], v[60:61], -0.5, v[40:41]
	v_fma_f64 v[62:63], v[62:63], -0.5, v[42:43]
	s_delay_alu instid0(VALU_DEP_2) | instskip(NEXT) | instid1(VALU_DEP_2)
	v_fma_f64 v[130:131], v[64:65], s[2:3], v[60:61]
	v_fma_f64 v[140:141], v[136:137], s[8:9], v[62:63]
	;; [unrolled: 1-line block ×4, first 2 shown]
	s_delay_alu instid0(VALU_DEP_4) | instskip(NEXT) | instid1(VALU_DEP_4)
	v_fma_f64 v[130:131], v[66:67], s[14:15], v[130:131]
	v_fma_f64 v[140:141], v[138:139], s[16:17], v[140:141]
	s_delay_alu instid0(VALU_DEP_4) | instskip(NEXT) | instid1(VALU_DEP_4)
	v_fma_f64 v[60:61], v[66:67], s[16:17], v[60:61]
	v_fma_f64 v[62:63], v[138:139], s[14:15], v[62:63]
	;; [unrolled: 3-line block ×4, first 2 shown]
	v_add_f64_e32 v[44:45], v[38:39], v[118:119]
	v_add_f64_e32 v[46:47], v[36:37], v[116:117]
	v_add_f64_e64 v[62:63], v[96:97], -v[104:105]
	s_delay_alu instid0(VALU_DEP_3) | instskip(NEXT) | instid1(VALU_DEP_3)
	v_fma_f64 v[44:45], v[44:45], -0.5, v[40:41]
	v_fma_f64 v[46:47], v[46:47], -0.5, v[42:43]
	v_add_f64_e32 v[40:41], v[40:41], v[38:39]
	v_add_f64_e32 v[42:43], v[42:43], v[36:37]
	v_add_f64_e64 v[38:39], v[50:51], -v[38:39]
	v_add_f64_e64 v[36:37], v[48:49], -v[36:37]
	s_delay_alu instid0(VALU_DEP_4) | instskip(NEXT) | instid1(VALU_DEP_4)
	v_add_f64_e32 v[40:41], v[40:41], v[50:51]
	v_add_f64_e32 v[42:43], v[42:43], v[48:49]
	v_add_f64_e64 v[48:49], v[114:115], -v[118:119]
	v_fma_f64 v[50:51], v[138:139], s[2:3], v[46:47]
	v_fma_f64 v[46:47], v[138:139], s[8:9], v[46:47]
	v_add_f64_e32 v[40:41], v[40:41], v[114:115]
	v_add_f64_e32 v[42:43], v[42:43], v[112:113]
	;; [unrolled: 1-line block ×3, first 2 shown]
	v_add_f64_e64 v[48:49], v[92:93], -v[106:107]
	v_fma_f64 v[46:47], v[136:137], s[14:15], v[46:47]
	v_add_f64_e32 v[167:168], v[40:41], v[118:119]
	v_add_f64_e32 v[169:170], v[42:43], v[116:117]
	v_add_f64_e64 v[40:41], v[112:113], -v[116:117]
	v_fma_f64 v[42:43], v[66:67], s[8:9], v[44:45]
	v_fma_f64 v[44:45], v[66:67], s[2:3], v[44:45]
	s_delay_alu instid0(VALU_DEP_3) | instskip(NEXT) | instid1(VALU_DEP_3)
	v_add_f64_e32 v[36:37], v[36:37], v[40:41]
	v_fma_f64 v[40:41], v[64:65], s[14:15], v[42:43]
	s_delay_alu instid0(VALU_DEP_3)
	v_fma_f64 v[42:43], v[64:65], s[16:17], v[44:45]
	v_fma_f64 v[44:45], v[136:137], s[16:17], v[50:51]
	v_add_f64_e64 v[50:51], v[100:101], -v[94:95]
	v_add_f64_e64 v[64:65], v[102:103], -v[98:99]
	v_fma_f64 v[118:119], v[36:37], s[18:19], v[46:47]
	v_fma_f64 v[112:113], v[38:39], s[18:19], v[40:41]
	;; [unrolled: 1-line block ×4, first 2 shown]
	v_add_f64_e64 v[36:37], v[96:97], -v[102:103]
	v_add_f64_e64 v[38:39], v[104:105], -v[98:99]
	v_add_f64_e32 v[44:45], v[102:103], v[98:99]
	v_add_f64_e32 v[46:47], v[100:101], v[94:95]
	s_delay_alu instid0(VALU_DEP_3) | instskip(SKIP_2) | instid1(VALU_DEP_1)
	v_add_f64_e32 v[40:41], v[36:37], v[38:39]
	v_add_f64_e64 v[36:37], v[92:93], -v[100:101]
	v_add_f64_e64 v[38:39], v[106:107], -v[94:95]
	v_add_f64_e32 v[42:43], v[36:37], v[38:39]
	ds_load_b128 v[36:39], v162 offset:1248
	s_wait_dscnt 0x0
	v_fma_f64 v[44:45], v[44:45], -0.5, v[36:37]
	v_fma_f64 v[46:47], v[46:47], -0.5, v[38:39]
	s_delay_alu instid0(VALU_DEP_2) | instskip(NEXT) | instid1(VALU_DEP_2)
	v_fma_f64 v[60:61], v[48:49], s[2:3], v[44:45]
	v_fma_f64 v[66:67], v[62:63], s[8:9], v[46:47]
	;; [unrolled: 1-line block ×4, first 2 shown]
	s_delay_alu instid0(VALU_DEP_4) | instskip(NEXT) | instid1(VALU_DEP_4)
	v_fma_f64 v[60:61], v[50:51], s[14:15], v[60:61]
	v_fma_f64 v[66:67], v[64:65], s[16:17], v[66:67]
	s_delay_alu instid0(VALU_DEP_4) | instskip(NEXT) | instid1(VALU_DEP_4)
	v_fma_f64 v[44:45], v[50:51], s[16:17], v[44:45]
	v_fma_f64 v[46:47], v[64:65], s[14:15], v[46:47]
	;; [unrolled: 3-line block ×4, first 2 shown]
	v_add_f64_e32 v[40:41], v[96:97], v[104:105]
	v_add_f64_e32 v[42:43], v[92:93], v[106:107]
	v_add_f64_e64 v[44:45], v[102:103], -v[96:97]
	v_add_f64_e64 v[46:47], v[100:101], -v[92:93]
	;; [unrolled: 1-line block ×3, first 2 shown]
	v_fma_f64 v[40:41], v[40:41], -0.5, v[36:37]
	v_fma_f64 v[42:43], v[42:43], -0.5, v[38:39]
	v_add_f64_e32 v[36:37], v[36:37], v[96:97]
	v_add_f64_e32 v[38:39], v[38:39], v[92:93]
	;; [unrolled: 1-line block ×3, first 2 shown]
	v_add_f64_e64 v[60:61], v[68:69], -v[90:91]
	s_delay_alu instid0(VALU_DEP_4) | instskip(NEXT) | instid1(VALU_DEP_4)
	v_add_f64_e32 v[36:37], v[36:37], v[102:103]
	v_add_f64_e32 v[38:39], v[38:39], v[100:101]
	v_add_f64_e64 v[100:101], v[70:71], -v[88:89]
	v_add_f64_e64 v[102:103], v[72:73], -v[86:87]
	s_delay_alu instid0(VALU_DEP_4) | instskip(NEXT) | instid1(VALU_DEP_4)
	v_add_f64_e32 v[36:37], v[36:37], v[98:99]
	v_add_f64_e32 v[38:39], v[38:39], v[94:95]
	s_delay_alu instid0(VALU_DEP_2) | instskip(NEXT) | instid1(VALU_DEP_2)
	v_add_f64_e32 v[96:97], v[36:37], v[104:105]
	v_add_f64_e32 v[98:99], v[38:39], v[106:107]
	v_add_f64_e64 v[36:37], v[94:95], -v[106:107]
	v_fma_f64 v[38:39], v[50:51], s[8:9], v[40:41]
	v_fma_f64 v[40:41], v[50:51], s[2:3], v[40:41]
	;; [unrolled: 1-line block ×4, first 2 shown]
	v_add_f64_e32 v[36:37], v[46:47], v[36:37]
	v_fma_f64 v[38:39], v[48:49], s[14:15], v[38:39]
	v_fma_f64 v[40:41], v[48:49], s[16:17], v[40:41]
	;; [unrolled: 1-line block ×4, first 2 shown]
	v_add_f64_e32 v[48:49], v[72:73], v[86:87]
	v_add_f64_e32 v[50:51], v[74:75], v[84:85]
	v_add_f64_e64 v[62:63], v[74:75], -v[84:85]
	v_fma_f64 v[92:93], v[44:45], s[18:19], v[38:39]
	v_add_f64_e64 v[38:39], v[88:89], -v[86:87]
	v_fma_f64 v[94:95], v[36:37], s[18:19], v[46:47]
	v_fma_f64 v[42:43], v[36:37], s[18:19], v[42:43]
	v_add_f64_e64 v[36:37], v[70:71], -v[72:73]
	v_fma_f64 v[40:41], v[44:45], s[18:19], v[40:41]
	s_delay_alu instid0(VALU_DEP_2) | instskip(SKIP_2) | instid1(VALU_DEP_1)
	v_add_f64_e32 v[44:45], v[36:37], v[38:39]
	v_add_f64_e64 v[36:37], v[68:69], -v[74:75]
	v_add_f64_e64 v[38:39], v[90:91], -v[84:85]
	v_add_f64_e32 v[46:47], v[36:37], v[38:39]
	ds_load_b128 v[36:39], v162 offset:1872
	s_wait_dscnt 0x0
	v_fma_f64 v[48:49], v[48:49], -0.5, v[36:37]
	v_fma_f64 v[50:51], v[50:51], -0.5, v[38:39]
	s_delay_alu instid0(VALU_DEP_2) | instskip(NEXT) | instid1(VALU_DEP_2)
	v_fma_f64 v[64:65], v[60:61], s[2:3], v[48:49]
	v_fma_f64 v[66:67], v[100:101], s[8:9], v[50:51]
	;; [unrolled: 1-line block ×4, first 2 shown]
	s_delay_alu instid0(VALU_DEP_4) | instskip(NEXT) | instid1(VALU_DEP_4)
	v_fma_f64 v[64:65], v[62:63], s[14:15], v[64:65]
	v_fma_f64 v[66:67], v[102:103], s[16:17], v[66:67]
	s_delay_alu instid0(VALU_DEP_4) | instskip(NEXT) | instid1(VALU_DEP_4)
	v_fma_f64 v[48:49], v[62:63], s[16:17], v[48:49]
	v_fma_f64 v[50:51], v[102:103], s[14:15], v[50:51]
	;; [unrolled: 3-line block ×4, first 2 shown]
	v_add_f64_e32 v[44:45], v[70:71], v[88:89]
	v_add_f64_e32 v[46:47], v[68:69], v[90:91]
	v_add_f64_e64 v[48:49], v[72:73], -v[70:71]
	v_add_f64_e64 v[50:51], v[74:75], -v[68:69]
	s_delay_alu instid0(VALU_DEP_4) | instskip(NEXT) | instid1(VALU_DEP_4)
	v_fma_f64 v[44:45], v[44:45], -0.5, v[36:37]
	v_fma_f64 v[46:47], v[46:47], -0.5, v[38:39]
	v_add_f64_e32 v[36:37], v[36:37], v[70:71]
	v_add_f64_e32 v[38:39], v[38:39], v[68:69]
	s_delay_alu instid0(VALU_DEP_2) | instskip(NEXT) | instid1(VALU_DEP_2)
	v_add_f64_e32 v[36:37], v[36:37], v[72:73]
	v_add_f64_e32 v[38:39], v[38:39], v[74:75]
	v_add_f64_e64 v[72:73], v[86:87], -v[88:89]
	s_delay_alu instid0(VALU_DEP_3) | instskip(NEXT) | instid1(VALU_DEP_3)
	v_add_f64_e32 v[36:37], v[36:37], v[86:87]
	v_add_f64_e32 v[38:39], v[38:39], v[84:85]
	s_delay_alu instid0(VALU_DEP_3) | instskip(NEXT) | instid1(VALU_DEP_3)
	v_add_f64_e32 v[48:49], v[48:49], v[72:73]
	v_add_f64_e32 v[68:69], v[36:37], v[88:89]
	s_delay_alu instid0(VALU_DEP_3)
	v_add_f64_e32 v[70:71], v[38:39], v[90:91]
	v_add_f64_e64 v[36:37], v[84:85], -v[90:91]
	v_fma_f64 v[38:39], v[62:63], s[8:9], v[44:45]
	v_fma_f64 v[44:45], v[62:63], s[2:3], v[44:45]
	;; [unrolled: 1-line block ×4, first 2 shown]
	v_add_f64_e64 v[88:89], v[58:59], -v[76:77]
	v_add_f64_e64 v[90:91], v[52:53], -v[82:83]
	;; [unrolled: 1-line block ×3, first 2 shown]
	v_add_f64_e32 v[36:37], v[50:51], v[36:37]
	v_fma_f64 v[38:39], v[60:61], s[14:15], v[38:39]
	v_fma_f64 v[44:45], v[60:61], s[16:17], v[44:45]
	;; [unrolled: 1-line block ×4, first 2 shown]
	v_add_f64_e64 v[100:101], v[56:57], -v[78:79]
	v_fma_f64 v[72:73], v[48:49], s[18:19], v[38:39]
	v_add_f64_e64 v[38:39], v[78:79], -v[80:81]
	v_fma_f64 v[74:75], v[36:37], s[18:19], v[50:51]
	v_fma_f64 v[62:63], v[36:37], s[18:19], v[46:47]
	v_add_f64_e64 v[36:37], v[56:57], -v[54:55]
	v_fma_f64 v[60:61], v[48:49], s[18:19], v[44:45]
	v_add_f64_e32 v[48:49], v[54:55], v[80:81]
	s_delay_alu instid0(VALU_DEP_3) | instskip(SKIP_2) | instid1(VALU_DEP_1)
	v_add_f64_e32 v[44:45], v[36:37], v[38:39]
	v_add_f64_e64 v[36:37], v[58:59], -v[52:53]
	v_add_f64_e64 v[38:39], v[76:77], -v[82:83]
	v_add_f64_e32 v[46:47], v[36:37], v[38:39]
	ds_load_b128 v[36:39], v162 offset:2496
	ds_store_b128 v162, v[108:111]
	ds_store_b128 v162, v[167:170] offset:624
	ds_store_b128 v162, v[96:99] offset:1248
	;; [unrolled: 1-line block ×10, first 2 shown]
	v_lshl_add_u32 v163, v135, 4, v128
	s_wait_dscnt 0xb
	v_fma_f64 v[84:85], v[48:49], -0.5, v[36:37]
	v_add_f64_e32 v[48:49], v[52:53], v[82:83]
	s_delay_alu instid0(VALU_DEP_1) | instskip(NEXT) | instid1(VALU_DEP_3)
	v_fma_f64 v[86:87], v[48:49], -0.5, v[38:39]
	v_fma_f64 v[48:49], v[88:89], s[8:9], v[84:85]
	v_fma_f64 v[84:85], v[88:89], s[2:3], v[84:85]
	s_delay_alu instid0(VALU_DEP_3) | instskip(SKIP_1) | instid1(VALU_DEP_4)
	v_fma_f64 v[50:51], v[100:101], s[2:3], v[86:87]
	v_fma_f64 v[86:87], v[100:101], s[8:9], v[86:87]
	;; [unrolled: 1-line block ×3, first 2 shown]
	s_delay_alu instid0(VALU_DEP_4) | instskip(NEXT) | instid1(VALU_DEP_4)
	v_fma_f64 v[84:85], v[90:91], s[16:17], v[84:85]
	v_fma_f64 v[50:51], v[102:103], s[16:17], v[50:51]
	s_delay_alu instid0(VALU_DEP_4) | instskip(NEXT) | instid1(VALU_DEP_4)
	v_fma_f64 v[86:87], v[102:103], s[14:15], v[86:87]
	v_fma_f64 v[48:49], v[44:45], s[18:19], v[48:49]
	s_delay_alu instid0(VALU_DEP_4) | instskip(SKIP_4) | instid1(VALU_DEP_4)
	v_fma_f64 v[44:45], v[44:45], s[18:19], v[84:85]
	v_add_f64_e32 v[84:85], v[56:57], v[78:79]
	v_fma_f64 v[50:51], v[46:47], s[18:19], v[50:51]
	v_fma_f64 v[46:47], v[46:47], s[18:19], v[86:87]
	v_add_f64_e32 v[86:87], v[58:59], v[76:77]
	v_fma_f64 v[84:85], v[84:85], -0.5, v[36:37]
	v_add_f64_e32 v[36:37], v[36:37], v[54:55]
	v_add_f64_e64 v[54:55], v[54:55], -v[56:57]
	s_delay_alu instid0(VALU_DEP_4) | instskip(SKIP_3) | instid1(VALU_DEP_3)
	v_fma_f64 v[86:87], v[86:87], -0.5, v[38:39]
	v_add_f64_e32 v[38:39], v[38:39], v[52:53]
	v_add_f64_e64 v[52:53], v[52:53], -v[58:59]
	v_add_f64_e32 v[36:37], v[36:37], v[56:57]
	v_add_f64_e32 v[38:39], v[38:39], v[58:59]
	s_delay_alu instid0(VALU_DEP_2) | instskip(SKIP_1) | instid1(VALU_DEP_3)
	v_add_f64_e32 v[36:37], v[36:37], v[78:79]
	v_add_f64_e64 v[78:79], v[80:81], -v[78:79]
	v_add_f64_e32 v[38:39], v[38:39], v[76:77]
	s_delay_alu instid0(VALU_DEP_3)
	v_add_f64_e32 v[56:57], v[36:37], v[80:81]
	v_add_f64_e64 v[36:37], v[82:83], -v[76:77]
	v_fma_f64 v[76:77], v[90:91], s[8:9], v[84:85]
	v_fma_f64 v[80:81], v[102:103], s[8:9], v[86:87]
	v_add_f64_e32 v[54:55], v[54:55], v[78:79]
	v_add_f64_e32 v[58:59], v[38:39], v[82:83]
	v_fma_f64 v[38:39], v[90:91], s[2:3], v[84:85]
	v_fma_f64 v[82:83], v[102:103], s[2:3], v[86:87]
	v_add_f64_e32 v[52:53], v[52:53], v[36:37]
	s_add_nc_u64 s[2:3], s[12:13], 0x3cf0
	s_delay_alu instid0(VALU_DEP_3) | instskip(SKIP_3) | instid1(VALU_DEP_4)
	v_fma_f64 v[36:37], v[88:89], s[14:15], v[38:39]
	v_fma_f64 v[38:39], v[88:89], s[16:17], v[76:77]
	;; [unrolled: 1-line block ×5, first 2 shown]
	s_delay_alu instid0(VALU_DEP_4) | instskip(NEXT) | instid1(VALU_DEP_4)
	v_fma_f64 v[36:37], v[54:55], s[18:19], v[38:39]
	v_fma_f64 v[138:139], v[52:53], s[18:19], v[76:77]
	s_delay_alu instid0(VALU_DEP_4)
	v_fma_f64 v[38:39], v[52:53], s[18:19], v[78:79]
	ds_store_b128 v163, v[171:174] offset:4368
	ds_store_b128 v163, v[92:95] offset:7488
	ds_store_b128 v162, v[68:71] offset:1872
	ds_store_b128 v162, v[56:59] offset:2496
	ds_store_b128 v163, v[72:75] offset:8112
	ds_store_b128 v163, v[148:151] offset:13728
	ds_store_b128 v163, v[140:143] offset:14352
	ds_store_b128 v163, v[64:67] offset:4992
	ds_store_b128 v163, v[136:139] offset:5616
	ds_store_b128 v163, v[40:43] offset:10608
	ds_store_b128 v163, v[48:51] offset:8736
	ds_store_b128 v163, v[60:63] offset:11232
	ds_store_b128 v163, v[44:47] offset:11856
	ds_store_b128 v163, v[36:39] offset:14976
	global_wb scope:SCOPE_SE
	s_wait_storecnt_dscnt 0x0
	s_barrier_signal -1
	s_barrier_wait -1
	global_inv scope:SCOPE_SE
	scratch_load_b64 v[0:1], off, off offset:8 ; 8-byte Folded Reload
	ds_load_b128 v[76:79], v162
	s_wait_loadcnt 0x0
	global_load_b128 v[52:55], v[0:1], off offset:15600
	s_wait_loadcnt_dscnt 0x0
	v_mul_f64_e32 v[80:81], v[78:79], v[54:55]
	v_mul_f64_e32 v[54:55], v[76:77], v[54:55]
	s_delay_alu instid0(VALU_DEP_2) | instskip(NEXT) | instid1(VALU_DEP_2)
	v_fma_f64 v[76:77], v[76:77], v[52:53], -v[80:81]
	v_fma_f64 v[78:79], v[78:79], v[52:53], v[54:55]
	global_load_b128 v[52:55], v128, s[2:3] offset:1200
	ds_load_b128 v[80:83], v162 offset:1200
	s_wait_loadcnt_dscnt 0x0
	v_mul_f64_e32 v[84:85], v[82:83], v[54:55]
	v_mul_f64_e32 v[54:55], v[80:81], v[54:55]
	s_delay_alu instid0(VALU_DEP_2) | instskip(NEXT) | instid1(VALU_DEP_2)
	v_fma_f64 v[80:81], v[80:81], v[52:53], -v[84:85]
	v_fma_f64 v[82:83], v[82:83], v[52:53], v[54:55]
	global_load_b128 v[52:55], v128, s[2:3] offset:2400
	ds_load_b128 v[84:87], v162 offset:2400
	;; [unrolled: 8-line block ×12, first 2 shown]
	s_wait_loadcnt_dscnt 0x0
	v_mul_f64_e32 v[129:130], v[126:127], v[54:55]
	v_mul_f64_e32 v[54:55], v[124:125], v[54:55]
	s_delay_alu instid0(VALU_DEP_2) | instskip(NEXT) | instid1(VALU_DEP_2)
	v_fma_f64 v[124:125], v[124:125], v[52:53], -v[129:130]
	v_fma_f64 v[126:127], v[126:127], v[52:53], v[54:55]
	ds_store_b128 v162, v[76:79]
	ds_store_b128 v162, v[80:83] offset:1200
	ds_store_b128 v162, v[84:87] offset:2400
	;; [unrolled: 1-line block ×12, first 2 shown]
	s_and_saveexec_b32 s1, vcc_lo
	s_cbranch_execz .LBB0_13
; %bb.12:
	s_wait_alu 0xfffe
	v_add_co_u32 v120, s2, s2, v128
	s_wait_alu 0xf1ff
	v_add_co_ci_u32_e64 v121, null, s3, 0, s2
	s_clause 0xc
	global_load_b128 v[52:55], v[120:121], off offset:624
	global_load_b128 v[76:79], v[120:121], off offset:1824
	;; [unrolled: 1-line block ×13, first 2 shown]
	ds_load_b128 v[124:127], v162 offset:624
	ds_load_b128 v[128:131], v162 offset:1824
	;; [unrolled: 1-line block ×7, first 2 shown]
	s_wait_loadcnt_dscnt 0xc06
	v_mul_f64_e32 v[160:161], v[126:127], v[54:55]
	v_mul_f64_e32 v[54:55], v[124:125], v[54:55]
	s_wait_loadcnt_dscnt 0xb05
	v_mul_f64_e32 v[172:173], v[130:131], v[78:79]
	v_mul_f64_e32 v[78:79], v[128:129], v[78:79]
	;; [unrolled: 3-line block ×7, first 2 shown]
	v_fma_f64 v[124:125], v[124:125], v[52:53], -v[160:161]
	v_fma_f64 v[126:127], v[126:127], v[52:53], v[54:55]
	ds_load_b128 v[52:55], v162 offset:9024
	v_fma_f64 v[128:129], v[128:129], v[76:77], -v[172:173]
	v_fma_f64 v[130:131], v[130:131], v[76:77], v[78:79]
	ds_load_b128 v[76:79], v162 offset:10224
	ds_load_b128 v[172:175], v162 offset:11424
	v_fma_f64 v[144:145], v[144:145], v[80:81], -v[176:177]
	v_fma_f64 v[146:147], v[146:147], v[80:81], v[82:83]
	ds_load_b128 v[80:83], v162 offset:12624
	;; [unrolled: 4-line block ×3, first 2 shown]
	v_fma_f64 v[156:157], v[156:157], v[88:89], -v[182:183]
	v_fma_f64 v[158:159], v[158:159], v[88:89], v[90:91]
	v_fma_f64 v[88:89], v[164:165], v[92:93], -v[184:185]
	v_fma_f64 v[90:91], v[166:167], v[92:93], v[94:95]
	;; [unrolled: 2-line block ×3, first 2 shown]
	s_wait_loadcnt_dscnt 0x505
	v_mul_f64_e32 v[160:161], v[54:55], v[102:103]
	v_mul_f64_e32 v[102:103], v[52:53], v[102:103]
	s_wait_loadcnt_dscnt 0x404
	v_mul_f64_e32 v[180:181], v[78:79], v[106:107]
	v_mul_f64_e32 v[106:107], v[76:77], v[106:107]
	;; [unrolled: 3-line block ×6, first 2 shown]
	v_fma_f64 v[52:53], v[52:53], v[100:101], -v[160:161]
	v_fma_f64 v[54:55], v[54:55], v[100:101], v[102:103]
	v_fma_f64 v[76:77], v[76:77], v[104:105], -v[180:181]
	v_fma_f64 v[78:79], v[78:79], v[104:105], v[106:107]
	;; [unrolled: 2-line block ×6, first 2 shown]
	ds_store_b128 v162, v[124:127] offset:624
	ds_store_b128 v162, v[128:131] offset:1824
	;; [unrolled: 1-line block ×13, first 2 shown]
.LBB0_13:
	s_wait_alu 0xfffe
	s_or_b32 exec_lo, exec_lo, s1
	global_wb scope:SCOPE_SE
	s_wait_dscnt 0x0
	s_barrier_signal -1
	s_barrier_wait -1
	global_inv scope:SCOPE_SE
	ds_load_b128 v[52:55], v162
	ds_load_b128 v[80:83], v162 offset:1200
	ds_load_b128 v[84:87], v162 offset:2400
	;; [unrolled: 1-line block ×12, first 2 shown]
	s_and_saveexec_b32 s1, vcc_lo
	s_cbranch_execz .LBB0_15
; %bb.14:
	s_clause 0x1
	scratch_load_b32 v0, off, off offset:16
	scratch_load_b64 v[1:2], off, off
	s_wait_loadcnt 0x0
	v_lshl_add_u32 v0, v1, 4, v0
	ds_load_b128 v[40:43], v162 offset:624
	ds_load_b128 v[148:151], v0 offset:1824
	;; [unrolled: 1-line block ×13, first 2 shown]
.LBB0_15:
	s_wait_alu 0xfffe
	s_or_b32 exec_lo, exec_lo, s1
	s_wait_dscnt 0xb
	v_add_f64_e32 v[124:125], v[52:53], v[80:81]
	v_add_f64_e32 v[126:127], v[54:55], v[82:83]
	s_wait_dscnt 0x5
	v_add_f64_e32 v[128:129], v[122:123], v[118:119]
	v_add_f64_e32 v[130:131], v[120:121], v[116:117]
	v_add_f64_e64 v[144:145], v[120:121], -v[116:117]
	s_wait_dscnt 0x3
	v_add_f64_e64 v[146:147], v[100:101], -v[104:105]
	s_wait_dscnt 0x1
	v_add_f64_e64 v[152:153], v[86:87], -v[94:95]
	v_add_f64_e32 v[154:155], v[84:85], v[92:93]
	v_add_f64_e64 v[156:157], v[84:85], -v[92:93]
	s_mov_b32 s44, 0x4267c47c
	s_mov_b32 s34, 0x42a4c3d2
	;; [unrolled: 1-line block ×29, first 2 shown]
	v_add_f64_e32 v[124:125], v[124:125], v[84:85]
	v_add_f64_e32 v[126:127], v[126:127], v[86:87]
	s_wait_alu 0xfffe
	s_mov_b32 s26, s44
	s_mov_b32 s28, s34
	;; [unrolled: 1-line block ×6, first 2 shown]
	v_mul_f64_e32 v[212:213], s[2:3], v[128:129]
	v_mul_f64_e32 v[214:215], s[24:25], v[152:153]
	;; [unrolled: 1-line block ×4, first 2 shown]
	s_wait_alu 0xfffe
	v_mul_f64_e32 v[246:247], s[30:31], v[152:153]
	global_wb scope:SCOPE_SE
	s_wait_dscnt 0x0
	s_barrier_signal -1
	s_barrier_wait -1
	global_inv scope:SCOPE_SE
	v_add_f64_e32 v[124:125], v[124:125], v[88:89]
	v_add_f64_e32 v[126:127], v[126:127], v[90:91]
	s_delay_alu instid0(VALU_DEP_2) | instskip(NEXT) | instid1(VALU_DEP_2)
	v_add_f64_e32 v[124:125], v[124:125], v[100:101]
	v_add_f64_e32 v[126:127], v[126:127], v[102:103]
	s_delay_alu instid0(VALU_DEP_2) | instskip(NEXT) | instid1(VALU_DEP_2)
	;; [unrolled: 3-line block ×3, first 2 shown]
	v_add_f64_e32 v[124:125], v[124:125], v[120:121]
	v_add_f64_e32 v[126:127], v[126:127], v[122:123]
	v_add_f64_e64 v[122:123], v[122:123], -v[118:119]
	v_add_f64_e32 v[120:121], v[110:111], v[114:115]
	s_delay_alu instid0(VALU_DEP_4) | instskip(NEXT) | instid1(VALU_DEP_4)
	v_add_f64_e32 v[116:117], v[124:125], v[116:117]
	v_add_f64_e32 v[118:119], v[126:127], v[118:119]
	;; [unrolled: 1-line block ×3, first 2 shown]
	v_add_f64_e64 v[126:127], v[108:109], -v[112:113]
	v_add_f64_e64 v[108:109], v[110:111], -v[114:115]
	v_mul_f64_e32 v[208:209], s[22:23], v[120:121]
	v_mul_f64_e32 v[210:211], s[26:27], v[122:123]
	;; [unrolled: 1-line block ×8, first 2 shown]
	v_add_f64_e32 v[110:111], v[116:117], v[112:113]
	v_add_f64_e32 v[112:113], v[118:119], v[114:115]
	;; [unrolled: 1-line block ×4, first 2 shown]
	v_add_f64_e64 v[118:119], v[102:103], -v[106:107]
	v_mul_f64_e32 v[206:207], s[30:31], v[108:109]
	v_mul_f64_e32 v[224:225], s[34:35], v[108:109]
	;; [unrolled: 1-line block ×3, first 2 shown]
	v_fma_f64 v[6:7], v[130:131], s[20:21], v[4:5]
	v_fma_f64 v[4:5], v[130:131], s[20:21], -v[4:5]
	v_add_f64_e32 v[100:101], v[110:111], v[104:105]
	v_add_f64_e32 v[102:103], v[112:113], v[106:107]
	;; [unrolled: 1-line block ×4, first 2 shown]
	v_add_f64_e64 v[88:89], v[88:89], -v[96:97]
	v_add_f64_e64 v[90:91], v[90:91], -v[98:99]
	v_add_f64_e32 v[112:113], v[86:87], v[94:95]
	v_mul_f64_e32 v[204:205], s[18:19], v[116:117]
	v_mul_f64_e32 v[220:221], s[26:27], v[118:119]
	;; [unrolled: 1-line block ×5, first 2 shown]
	v_add_f64_e32 v[96:97], v[100:101], v[96:97]
	v_add_f64_e32 v[98:99], v[102:103], v[98:99]
	v_mul_f64_e32 v[218:219], s[20:21], v[106:107]
	v_mul_f64_e32 v[232:233], s[2:3], v[106:107]
	;; [unrolled: 1-line block ×3, first 2 shown]
	v_add_f64_e32 v[84:85], v[96:97], v[92:93]
	v_add_f64_e32 v[86:87], v[98:99], v[94:95]
	v_add_f64_e64 v[92:93], v[82:83], -v[78:79]
	v_add_f64_e32 v[94:95], v[80:81], v[76:77]
	v_add_f64_e32 v[82:83], v[82:83], v[78:79]
	v_add_f64_e64 v[80:81], v[80:81], -v[76:77]
	v_add_f64_e32 v[76:77], v[84:85], v[76:77]
	v_add_f64_e32 v[78:79], v[86:87], v[78:79]
	v_mul_f64_e32 v[84:85], s[44:45], v[92:93]
	v_mul_f64_e32 v[86:87], s[34:35], v[92:93]
	;; [unrolled: 1-line block ×10, first 2 shown]
	ds_store_b128 v134, v[76:79]
	v_fma_f64 v[102:103], v[94:95], s[2:3], v[84:85]
	v_fma_f64 v[84:85], v[94:95], s[2:3], -v[84:85]
	v_fma_f64 v[104:105], v[94:95], s[16:17], v[86:87]
	v_fma_f64 v[86:87], v[94:95], s[16:17], -v[86:87]
	;; [unrolled: 2-line block ×6, first 2 shown]
	v_mul_f64_e32 v[94:95], s[2:3], v[82:83]
	v_mul_f64_e32 v[82:83], s[14:15], v[82:83]
	v_fma_f64 v[178:179], v[80:81], s[28:29], v[168:169]
	v_fma_f64 v[168:169], v[80:81], s[34:35], v[168:169]
	;; [unrolled: 1-line block ×8, first 2 shown]
	v_add_f64_e32 v[76:77], v[140:141], v[56:57]
	v_add_f64_e32 v[84:85], v[52:53], v[84:85]
	;; [unrolled: 1-line block ×9, first 2 shown]
	v_fma_f64 v[176:177], v[80:81], s[26:27], v[94:95]
	v_fma_f64 v[94:95], v[80:81], s[44:45], v[94:95]
	;; [unrolled: 1-line block ×4, first 2 shown]
	v_add_f64_e32 v[82:83], v[52:53], v[102:103]
	v_add_f64_e32 v[188:189], v[54:55], v[168:169]
	;; [unrolled: 1-line block ×14, first 2 shown]
	v_mul_f64_e32 v[80:81], s[34:35], v[152:153]
	v_mul_f64_e32 v[86:87], s[36:37], v[90:91]
	v_add_f64_e32 v[94:95], v[54:55], v[94:95]
	v_add_f64_e32 v[186:187], v[54:55], v[186:187]
	s_delay_alu instid0(VALU_DEP_4) | instskip(NEXT) | instid1(VALU_DEP_4)
	v_fma_f64 v[52:53], v[154:155], s[16:17], v[80:81]
	v_fma_f64 v[96:97], v[110:111], s[22:23], v[86:87]
	v_fma_f64 v[80:81], v[154:155], s[16:17], -v[80:81]
	s_delay_alu instid0(VALU_DEP_3) | instskip(SKIP_1) | instid1(VALU_DEP_3)
	v_add_f64_e32 v[52:53], v[52:53], v[82:83]
	v_mul_f64_e32 v[82:83], s[16:17], v[112:113]
	v_add_f64_e32 v[80:81], v[80:81], v[84:85]
	v_fma_f64 v[84:85], v[110:111], s[22:23], -v[86:87]
	s_delay_alu instid0(VALU_DEP_4) | instskip(NEXT) | instid1(VALU_DEP_4)
	v_add_f64_e32 v[52:53], v[96:97], v[52:53]
	v_fma_f64 v[54:55], v[156:157], s[28:29], v[82:83]
	v_mul_f64_e32 v[96:97], s[22:23], v[106:107]
	v_fma_f64 v[82:83], v[156:157], s[34:35], v[82:83]
	v_add_f64_e32 v[80:81], v[84:85], v[80:81]
	s_delay_alu instid0(VALU_DEP_4) | instskip(NEXT) | instid1(VALU_DEP_4)
	v_add_f64_e32 v[54:55], v[54:55], v[102:103]
	v_fma_f64 v[98:99], v[88:89], s[30:31], v[96:97]
	s_delay_alu instid0(VALU_DEP_4) | instskip(SKIP_1) | instid1(VALU_DEP_3)
	v_add_f64_e32 v[82:83], v[82:83], v[94:95]
	v_fma_f64 v[84:85], v[88:89], s[36:37], v[96:97]
	v_add_f64_e32 v[54:55], v[98:99], v[54:55]
	v_mul_f64_e32 v[98:99], s[12:13], v[118:119]
	s_delay_alu instid0(VALU_DEP_3) | instskip(NEXT) | instid1(VALU_DEP_2)
	v_add_f64_e32 v[82:83], v[84:85], v[82:83]
	v_fma_f64 v[100:101], v[114:115], s[20:21], v[98:99]
	v_fma_f64 v[84:85], v[114:115], s[20:21], -v[98:99]
	v_fma_f64 v[98:99], v[110:111], s[20:21], v[216:217]
	s_delay_alu instid0(VALU_DEP_3) | instskip(SKIP_1) | instid1(VALU_DEP_4)
	v_add_f64_e32 v[52:53], v[100:101], v[52:53]
	v_mul_f64_e32 v[100:101], s[20:21], v[116:117]
	v_add_f64_e32 v[80:81], v[84:85], v[80:81]
	s_delay_alu instid0(VALU_DEP_2) | instskip(SKIP_1) | instid1(VALU_DEP_2)
	v_fma_f64 v[102:103], v[146:147], s[42:43], v[100:101]
	v_fma_f64 v[84:85], v[146:147], s[12:13], v[100:101]
	v_add_f64_e32 v[54:55], v[102:103], v[54:55]
	v_mul_f64_e32 v[102:103], s[8:9], v[108:109]
	s_delay_alu instid0(VALU_DEP_3) | instskip(NEXT) | instid1(VALU_DEP_2)
	v_add_f64_e32 v[82:83], v[84:85], v[82:83]
	v_fma_f64 v[196:197], v[124:125], s[18:19], v[102:103]
	v_fma_f64 v[84:85], v[124:125], s[18:19], -v[102:103]
	s_delay_alu instid0(VALU_DEP_2) | instskip(SKIP_1) | instid1(VALU_DEP_3)
	v_add_f64_e32 v[52:53], v[196:197], v[52:53]
	v_mul_f64_e32 v[196:197], s[18:19], v[120:121]
	v_add_f64_e32 v[80:81], v[84:85], v[80:81]
	v_mul_f64_e32 v[120:121], s[20:21], v[120:121]
	s_delay_alu instid0(VALU_DEP_3) | instskip(SKIP_2) | instid1(VALU_DEP_3)
	v_fma_f64 v[198:199], v[126:127], s[40:41], v[196:197]
	v_fma_f64 v[84:85], v[126:127], s[8:9], v[196:197]
	v_mul_f64_e32 v[196:197], s[12:13], v[152:153]
	v_add_f64_e32 v[54:55], v[198:199], v[54:55]
	v_mul_f64_e32 v[198:199], s[24:25], v[122:123]
	s_delay_alu instid0(VALU_DEP_4) | instskip(SKIP_1) | instid1(VALU_DEP_3)
	v_add_f64_e32 v[82:83], v[84:85], v[82:83]
	v_mul_f64_e32 v[122:123], s[30:31], v[122:123]
	v_fma_f64 v[200:201], v[130:131], s[14:15], v[198:199]
	v_fma_f64 v[84:85], v[130:131], s[14:15], -v[198:199]
	v_mul_f64_e32 v[198:199], s[20:21], v[112:113]
	s_delay_alu instid0(VALU_DEP_3) | instskip(SKIP_1) | instid1(VALU_DEP_4)
	v_add_f64_e32 v[52:53], v[200:201], v[52:53]
	v_mul_f64_e32 v[200:201], s[14:15], v[128:129]
	v_add_f64_e32 v[80:81], v[84:85], v[80:81]
	v_fma_f64 v[84:85], v[154:155], s[20:21], v[196:197]
	s_delay_alu instid0(VALU_DEP_3) | instskip(SKIP_1) | instid1(VALU_DEP_3)
	v_fma_f64 v[86:87], v[144:145], s[24:25], v[200:201]
	v_fma_f64 v[202:203], v[144:145], s[38:39], v[200:201]
	v_add_f64_e32 v[84:85], v[84:85], v[104:105]
	v_mul_f64_e32 v[200:201], s[14:15], v[106:107]
	s_delay_alu instid0(VALU_DEP_4)
	v_add_f64_e32 v[82:83], v[86:87], v[82:83]
	v_fma_f64 v[86:87], v[156:157], s[42:43], v[198:199]
	v_add_f64_e32 v[54:55], v[202:203], v[54:55]
	v_mul_f64_e32 v[202:203], s[40:41], v[118:119]
	ds_store_b128 v134, v[80:83] offset:192
	v_add_f64_e32 v[86:87], v[86:87], v[176:177]
	v_mul_f64_e32 v[176:177], s[24:25], v[90:91]
	ds_store_b128 v134, v[52:55] offset:16
	v_add_f64_e64 v[80:81], v[142:143], -v[58:59]
	v_fma_f64 v[94:95], v[110:111], s[14:15], v[176:177]
	s_delay_alu instid0(VALU_DEP_2) | instskip(NEXT) | instid1(VALU_DEP_2)
	v_mul_f64_e32 v[78:79], s[24:25], v[80:81]
	v_add_f64_e32 v[84:85], v[94:95], v[84:85]
	v_fma_f64 v[94:95], v[88:89], s[38:39], v[200:201]
	s_delay_alu instid0(VALU_DEP_1) | instskip(SKIP_1) | instid1(VALU_DEP_1)
	v_add_f64_e32 v[86:87], v[94:95], v[86:87]
	v_fma_f64 v[94:95], v[114:115], s[18:19], v[202:203]
	v_add_f64_e32 v[84:85], v[94:95], v[84:85]
	v_fma_f64 v[94:95], v[146:147], s[8:9], v[204:205]
	s_delay_alu instid0(VALU_DEP_1) | instskip(SKIP_1) | instid1(VALU_DEP_1)
	v_add_f64_e32 v[86:87], v[94:95], v[86:87]
	v_fma_f64 v[94:95], v[124:125], s[22:23], v[206:207]
	;; [unrolled: 5-line block ×4, first 2 shown]
	v_add_f64_e32 v[94:95], v[94:95], v[158:159]
	v_mul_f64_e32 v[158:159], s[14:15], v[112:113]
	s_delay_alu instid0(VALU_DEP_2) | instskip(NEXT) | instid1(VALU_DEP_2)
	v_add_f64_e32 v[94:95], v[98:99], v[94:95]
	v_fma_f64 v[96:97], v[156:157], s[38:39], v[158:159]
	v_fma_f64 v[98:99], v[88:89], s[12:13], v[218:219]
	s_delay_alu instid0(VALU_DEP_2) | instskip(SKIP_1) | instid1(VALU_DEP_2)
	v_add_f64_e32 v[96:97], v[96:97], v[168:169]
	v_mul_f64_e32 v[168:169], s[40:41], v[152:153]
	v_add_f64_e32 v[96:97], v[98:99], v[96:97]
	v_fma_f64 v[98:99], v[114:115], s[2:3], v[220:221]
	s_delay_alu instid0(VALU_DEP_1) | instskip(SKIP_1) | instid1(VALU_DEP_1)
	v_add_f64_e32 v[94:95], v[98:99], v[94:95]
	v_fma_f64 v[98:99], v[146:147], s[44:45], v[222:223]
	v_add_f64_e32 v[96:97], v[98:99], v[96:97]
	v_fma_f64 v[98:99], v[124:125], s[16:17], v[224:225]
	s_delay_alu instid0(VALU_DEP_1) | instskip(SKIP_1) | instid1(VALU_DEP_1)
	v_add_f64_e32 v[94:95], v[98:99], v[94:95]
	v_fma_f64 v[98:99], v[126:127], s[28:29], v[226:227]
	v_add_f64_e32 v[96:97], v[98:99], v[96:97]
	v_fma_f64 v[98:99], v[130:131], s[18:19], v[228:229]
	s_delay_alu instid0(VALU_DEP_1) | instskip(SKIP_1) | instid1(VALU_DEP_1)
	v_add_f64_e32 v[94:95], v[98:99], v[94:95]
	v_fma_f64 v[98:99], v[144:145], s[40:41], v[230:231]
	v_add_f64_e32 v[96:97], v[98:99], v[96:97]
	v_fma_f64 v[98:99], v[154:155], s[18:19], v[168:169]
	ds_store_b128 v134, v[84:87] offset:32
	v_add_f64_e32 v[86:87], v[142:143], v[58:59]
	v_add_f64_e64 v[84:85], v[140:141], -v[56:57]
	ds_store_b128 v134, v[94:97] offset:48
	v_add_f64_e32 v[98:99], v[98:99], v[160:161]
	v_mul_f64_e32 v[160:161], s[18:19], v[112:113]
	v_add_f64_e32 v[94:95], v[60:61], v[136:137]
	v_mul_f64_e32 v[82:83], s[14:15], v[86:87]
	s_delay_alu instid0(VALU_DEP_3) | instskip(NEXT) | instid1(VALU_DEP_1)
	v_fma_f64 v[100:101], v[156:157], s[8:9], v[160:161]
	v_add_f64_e32 v[100:101], v[100:101], v[170:171]
	v_mul_f64_e32 v[170:171], s[26:27], v[90:91]
	s_delay_alu instid0(VALU_DEP_1) | instskip(NEXT) | instid1(VALU_DEP_1)
	v_fma_f64 v[102:103], v[110:111], s[2:3], v[170:171]
	v_add_f64_e32 v[98:99], v[102:103], v[98:99]
	v_fma_f64 v[102:103], v[88:89], s[44:45], v[232:233]
	s_delay_alu instid0(VALU_DEP_1) | instskip(SKIP_1) | instid1(VALU_DEP_1)
	v_add_f64_e32 v[100:101], v[102:103], v[100:101]
	v_fma_f64 v[102:103], v[114:115], s[22:23], v[234:235]
	v_add_f64_e32 v[98:99], v[102:103], v[98:99]
	v_fma_f64 v[102:103], v[146:147], s[30:31], v[236:237]
	s_delay_alu instid0(VALU_DEP_1) | instskip(SKIP_1) | instid1(VALU_DEP_1)
	v_add_f64_e32 v[100:101], v[102:103], v[100:101]
	;; [unrolled: 5-line block ×4, first 2 shown]
	v_fma_f64 v[102:103], v[154:155], s[22:23], v[246:247]
	v_add_f64_e32 v[102:103], v[102:103], v[164:165]
	v_mul_f64_e32 v[164:165], s[22:23], v[112:113]
	v_mul_f64_e32 v[112:113], s[2:3], v[112:113]
	s_delay_alu instid0(VALU_DEP_2) | instskip(NEXT) | instid1(VALU_DEP_1)
	v_fma_f64 v[104:105], v[156:157], s[36:37], v[164:165]
	v_add_f64_e32 v[104:105], v[104:105], v[184:185]
	v_mul_f64_e32 v[184:185], s[34:35], v[90:91]
	v_mul_f64_e32 v[90:91], s[8:9], v[90:91]
	s_delay_alu instid0(VALU_DEP_2) | instskip(NEXT) | instid1(VALU_DEP_1)
	v_fma_f64 v[248:249], v[110:111], s[16:17], v[184:185]
	v_add_f64_e32 v[102:103], v[248:249], v[102:103]
	v_mul_f64_e32 v[248:249], s[16:17], v[106:107]
	s_delay_alu instid0(VALU_DEP_1) | instskip(NEXT) | instid1(VALU_DEP_1)
	v_fma_f64 v[250:251], v[88:89], s[28:29], v[248:249]
	v_add_f64_e32 v[104:105], v[250:251], v[104:105]
	v_mul_f64_e32 v[250:251], s[38:39], v[118:119]
	v_mul_f64_e32 v[118:119], s[28:29], v[118:119]
	s_delay_alu instid0(VALU_DEP_2) | instskip(NEXT) | instid1(VALU_DEP_1)
	v_fma_f64 v[252:253], v[114:115], s[14:15], v[250:251]
	v_add_f64_e32 v[102:103], v[252:253], v[102:103]
	v_mul_f64_e32 v[252:253], s[14:15], v[116:117]
	v_mul_f64_e32 v[116:117], s[16:17], v[116:117]
	s_delay_alu instid0(VALU_DEP_2) | instskip(NEXT) | instid1(VALU_DEP_1)
	v_fma_f64 v[254:255], v[146:147], s[24:25], v[252:253]
	v_add_f64_e32 v[104:105], v[254:255], v[104:105]
	v_mul_f64_e32 v[254:255], s[26:27], v[108:109]
	s_delay_alu instid0(VALU_DEP_1) | instskip(NEXT) | instid1(VALU_DEP_1)
	v_fma_f64 v[0:1], v[124:125], s[2:3], v[254:255]
	v_add_f64_e32 v[0:1], v[0:1], v[102:103]
	v_fma_f64 v[102:103], v[126:127], s[44:45], v[2:3]
	v_fma_f64 v[2:3], v[126:127], s[26:27], v[2:3]
	s_delay_alu instid0(VALU_DEP_2) | instskip(NEXT) | instid1(VALU_DEP_4)
	v_add_f64_e32 v[104:105], v[102:103], v[104:105]
	v_add_f64_e32 v[102:103], v[6:7], v[0:1]
	v_mul_f64_e32 v[0:1], s[20:21], v[128:129]
	v_mul_f64_e32 v[128:129], s[22:23], v[128:129]
	s_delay_alu instid0(VALU_DEP_2) | instskip(SKIP_1) | instid1(VALU_DEP_2)
	v_fma_f64 v[6:7], v[144:145], s[42:43], v[0:1]
	v_fma_f64 v[0:1], v[144:145], s[12:13], v[0:1]
	v_add_f64_e32 v[104:105], v[6:7], v[104:105]
	v_mul_f64_e32 v[6:7], s[26:27], v[152:153]
	ds_store_b128 v134, v[98:101] offset:64
	v_add_f64_e64 v[98:99], v[74:75], -v[50:51]
	v_add_f64_e64 v[100:101], v[62:63], -v[138:139]
	ds_store_b128 v134, v[102:105] offset:80
	v_fma_f64 v[152:153], v[154:155], s[2:3], v[6:7]
	v_fma_f64 v[6:7], v[154:155], s[2:3], -v[6:7]
	v_add_f64_e32 v[102:103], v[72:73], v[48:49]
	v_mul_f64_e32 v[104:105], s[12:13], v[98:99]
	v_mul_f64_e32 v[96:97], s[8:9], v[100:101]
	v_add_f64_e32 v[152:153], v[152:153], v[166:167]
	v_fma_f64 v[166:167], v[156:157], s[44:45], v[112:113]
	v_add_f64_e32 v[6:7], v[6:7], v[92:93]
	v_fma_f64 v[92:93], v[156:157], s[26:27], v[112:113]
	v_fma_f64 v[112:113], v[144:145], s[30:31], v[128:129]
	s_delay_alu instid0(VALU_DEP_4) | instskip(SKIP_3) | instid1(VALU_DEP_3)
	v_add_f64_e32 v[166:167], v[166:167], v[186:187]
	v_fma_f64 v[186:187], v[110:111], s[18:19], v[90:91]
	v_fma_f64 v[90:91], v[110:111], s[18:19], -v[90:91]
	v_add_f64_e32 v[92:93], v[92:93], v[194:195]
	v_add_f64_e32 v[152:153], v[186:187], v[152:153]
	v_mul_f64_e32 v[186:187], s[18:19], v[106:107]
	s_delay_alu instid0(VALU_DEP_4) | instskip(NEXT) | instid1(VALU_DEP_2)
	v_add_f64_e32 v[6:7], v[90:91], v[6:7]
	v_fma_f64 v[106:107], v[88:89], s[40:41], v[186:187]
	v_fma_f64 v[90:91], v[88:89], s[8:9], v[186:187]
	s_delay_alu instid0(VALU_DEP_2) | instskip(SKIP_1) | instid1(VALU_DEP_3)
	v_add_f64_e32 v[106:107], v[106:107], v[166:167]
	v_fma_f64 v[166:167], v[114:115], s[16:17], v[118:119]
	v_add_f64_e32 v[90:91], v[90:91], v[92:93]
	v_fma_f64 v[92:93], v[114:115], s[16:17], -v[118:119]
	s_delay_alu instid0(VALU_DEP_3) | instskip(SKIP_1) | instid1(VALU_DEP_3)
	v_add_f64_e32 v[152:153], v[166:167], v[152:153]
	v_fma_f64 v[166:167], v[146:147], s[34:35], v[116:117]
	v_add_f64_e32 v[6:7], v[92:93], v[6:7]
	v_fma_f64 v[92:93], v[146:147], s[28:29], v[116:117]
	v_add_f64_e32 v[116:117], v[70:71], v[38:39]
	s_delay_alu instid0(VALU_DEP_4) | instskip(SKIP_1) | instid1(VALU_DEP_4)
	v_add_f64_e32 v[106:107], v[166:167], v[106:107]
	v_mul_f64_e32 v[166:167], s[12:13], v[108:109]
	v_add_f64_e32 v[90:91], v[92:93], v[90:91]
	s_delay_alu instid0(VALU_DEP_2) | instskip(SKIP_1) | instid1(VALU_DEP_2)
	v_fma_f64 v[92:93], v[124:125], s[20:21], -v[166:167]
	v_fma_f64 v[108:109], v[124:125], s[20:21], v[166:167]
	v_add_f64_e32 v[6:7], v[92:93], v[6:7]
	v_fma_f64 v[92:93], v[126:127], s[12:13], v[120:121]
	s_delay_alu instid0(VALU_DEP_3) | instskip(SKIP_1) | instid1(VALU_DEP_3)
	v_add_f64_e32 v[108:109], v[108:109], v[152:153]
	v_fma_f64 v[152:153], v[126:127], s[42:43], v[120:121]
	v_add_f64_e32 v[90:91], v[92:93], v[90:91]
	v_fma_f64 v[92:93], v[130:131], s[22:23], -v[122:123]
	s_delay_alu instid0(VALU_DEP_3) | instskip(SKIP_1) | instid1(VALU_DEP_4)
	v_add_f64_e32 v[152:153], v[152:153], v[106:107]
	v_fma_f64 v[106:107], v[130:131], s[22:23], v[122:123]
	v_add_f64_e32 v[120:121], v[112:113], v[90:91]
	s_delay_alu instid0(VALU_DEP_4)
	v_add_f64_e32 v[118:119], v[92:93], v[6:7]
	v_fma_f64 v[6:7], v[154:155], s[22:23], -v[246:247]
	v_fma_f64 v[90:91], v[156:157], s[30:31], v[164:165]
	v_fma_f64 v[92:93], v[110:111], s[16:17], -v[184:185]
	v_add_f64_e32 v[106:107], v[106:107], v[108:109]
	v_fma_f64 v[108:109], v[144:145], s[36:37], v[128:129]
	v_add_f64_e64 v[112:113], v[66:67], -v[46:47]
	v_add_f64_e32 v[128:129], v[66:67], v[46:47]
	ds_store_b128 v134, v[118:121] offset:112
	v_add_f64_e32 v[6:7], v[6:7], v[192:193]
	v_add_f64_e32 v[90:91], v[90:91], v[174:175]
	;; [unrolled: 1-line block ×3, first 2 shown]
	v_add_f64_e64 v[118:119], v[72:73], -v[48:49]
	v_add_f64_e32 v[108:109], v[108:109], v[152:153]
	v_add_f64_e64 v[152:153], v[150:151], -v[34:35]
	v_mul_f64_e32 v[122:123], s[36:37], v[112:113]
	v_add_f64_e32 v[6:7], v[92:93], v[6:7]
	v_fma_f64 v[92:93], v[88:89], s[34:35], v[248:249]
	ds_store_b128 v134, v[106:109] offset:96
	v_add_f64_e32 v[106:107], v[62:63], v[138:139]
	v_add_f64_e64 v[108:109], v[60:61], -v[136:137]
	v_add_f64_e32 v[90:91], v[92:93], v[90:91]
	v_fma_f64 v[92:93], v[114:115], s[14:15], -v[250:251]
	s_delay_alu instid0(VALU_DEP_1) | instskip(SKIP_1) | instid1(VALU_DEP_1)
	v_add_f64_e32 v[6:7], v[92:93], v[6:7]
	v_fma_f64 v[92:93], v[146:147], s[38:39], v[252:253]
	v_add_f64_e32 v[90:91], v[92:93], v[90:91]
	v_fma_f64 v[92:93], v[124:125], s[2:3], -v[254:255]
	s_delay_alu instid0(VALU_DEP_2) | instskip(NEXT) | instid1(VALU_DEP_2)
	v_add_f64_e32 v[2:3], v[2:3], v[90:91]
	v_add_f64_e32 v[6:7], v[92:93], v[6:7]
	v_fma_f64 v[90:91], v[146:147], s[40:41], v[204:205]
	v_add_f64_e64 v[92:93], v[70:71], -v[38:39]
	s_delay_alu instid0(VALU_DEP_4)
	v_add_f64_e32 v[166:167], v[0:1], v[2:3]
	v_fma_f64 v[0:1], v[154:155], s[18:19], -v[168:169]
	v_add_f64_e32 v[164:165], v[4:5], v[6:7]
	v_fma_f64 v[2:3], v[156:157], s[40:41], v[160:161]
	v_fma_f64 v[4:5], v[110:111], s[2:3], -v[170:171]
	v_fma_f64 v[6:7], v[144:145], s[28:29], v[244:245]
	v_add_f64_e32 v[0:1], v[0:1], v[182:183]
	s_delay_alu instid0(VALU_DEP_4) | instskip(NEXT) | instid1(VALU_DEP_2)
	v_add_f64_e32 v[2:3], v[2:3], v[172:173]
	v_add_f64_e32 v[0:1], v[4:5], v[0:1]
	v_fma_f64 v[4:5], v[88:89], s[26:27], v[232:233]
	s_delay_alu instid0(VALU_DEP_1) | instskip(SKIP_1) | instid1(VALU_DEP_1)
	v_add_f64_e32 v[2:3], v[4:5], v[2:3]
	v_fma_f64 v[4:5], v[114:115], s[22:23], -v[234:235]
	v_add_f64_e32 v[0:1], v[4:5], v[0:1]
	v_fma_f64 v[4:5], v[146:147], s[36:37], v[236:237]
	s_delay_alu instid0(VALU_DEP_1) | instskip(SKIP_1) | instid1(VALU_DEP_1)
	v_add_f64_e32 v[2:3], v[4:5], v[2:3]
	v_fma_f64 v[4:5], v[124:125], s[14:15], -v[238:239]
	v_add_f64_e32 v[0:1], v[4:5], v[0:1]
	v_fma_f64 v[4:5], v[126:127], s[38:39], v[240:241]
	s_delay_alu instid0(VALU_DEP_1) | instskip(SKIP_1) | instid1(VALU_DEP_2)
	v_add_f64_e32 v[2:3], v[4:5], v[2:3]
	v_fma_f64 v[4:5], v[130:131], s[16:17], -v[242:243]
	v_add_f64_e32 v[170:171], v[6:7], v[2:3]
	s_delay_alu instid0(VALU_DEP_2)
	v_add_f64_e32 v[168:169], v[4:5], v[0:1]
	v_fma_f64 v[0:1], v[154:155], s[14:15], -v[214:215]
	v_fma_f64 v[2:3], v[156:157], s[24:25], v[158:159]
	v_fma_f64 v[4:5], v[110:111], s[20:21], -v[216:217]
	v_fma_f64 v[6:7], v[144:145], s[8:9], v[230:231]
	v_add_f64_e64 v[158:159], v[148:149], -v[32:33]
	ds_store_b128 v134, v[164:167] offset:128
	ds_store_b128 v134, v[168:171] offset:144
	v_add_f64_e32 v[0:1], v[0:1], v[180:181]
	v_add_f64_e32 v[2:3], v[2:3], v[190:191]
	s_delay_alu instid0(VALU_DEP_2) | instskip(SKIP_1) | instid1(VALU_DEP_1)
	v_add_f64_e32 v[0:1], v[4:5], v[0:1]
	v_fma_f64 v[4:5], v[88:89], s[42:43], v[218:219]
	v_add_f64_e32 v[2:3], v[4:5], v[2:3]
	v_fma_f64 v[4:5], v[114:115], s[2:3], -v[220:221]
	s_delay_alu instid0(VALU_DEP_1) | instskip(SKIP_2) | instid1(VALU_DEP_2)
	v_add_f64_e32 v[0:1], v[4:5], v[0:1]
	v_fma_f64 v[4:5], v[146:147], s[26:27], v[222:223]
	v_add_f64_e32 v[146:147], v[148:149], v[32:33]
	v_add_f64_e32 v[2:3], v[4:5], v[2:3]
	v_fma_f64 v[4:5], v[124:125], s[16:17], -v[224:225]
	s_delay_alu instid0(VALU_DEP_1) | instskip(SKIP_1) | instid1(VALU_DEP_1)
	v_add_f64_e32 v[0:1], v[4:5], v[0:1]
	v_fma_f64 v[4:5], v[126:127], s[34:35], v[226:227]
	v_add_f64_e32 v[2:3], v[4:5], v[2:3]
	v_fma_f64 v[4:5], v[130:131], s[18:19], -v[228:229]
	s_delay_alu instid0(VALU_DEP_2) | instskip(NEXT) | instid1(VALU_DEP_2)
	v_add_f64_e32 v[174:175], v[6:7], v[2:3]
	v_add_f64_e32 v[172:173], v[4:5], v[0:1]
	v_fma_f64 v[0:1], v[154:155], s[20:21], -v[196:197]
	v_fma_f64 v[2:3], v[156:157], s[12:13], v[198:199]
	v_fma_f64 v[4:5], v[110:111], s[14:15], -v[176:177]
	v_fma_f64 v[6:7], v[88:89], s[24:25], v[200:201]
	v_fma_f64 v[88:89], v[114:115], s[18:19], -v[202:203]
	v_mul_f64_e32 v[154:155], s[44:45], v[152:153]
	v_add_f64_e32 v[156:157], v[150:151], v[34:35]
	v_add_f64_e32 v[114:115], v[74:75], v[50:51]
	v_mul_f64_e32 v[110:111], s[18:19], v[106:107]
	v_add_f64_e32 v[0:1], v[0:1], v[178:179]
	v_add_f64_e32 v[2:3], v[2:3], v[188:189]
	v_mul_f64_e32 v[160:161], s[2:3], v[156:157]
	s_delay_alu instid0(VALU_DEP_3) | instskip(NEXT) | instid1(VALU_DEP_3)
	v_add_f64_e32 v[0:1], v[4:5], v[0:1]
	v_add_f64_e32 v[2:3], v[6:7], v[2:3]
	v_fma_f64 v[4:5], v[124:125], s[22:23], -v[206:207]
	v_fma_f64 v[6:7], v[126:127], s[30:31], v[208:209]
	v_add_f64_e64 v[124:125], v[68:69], -v[36:37]
	v_mul_f64_e32 v[126:127], s[16:17], v[116:117]
	v_add_f64_e32 v[0:1], v[88:89], v[0:1]
	v_add_f64_e32 v[2:3], v[90:91], v[2:3]
	;; [unrolled: 1-line block ×3, first 2 shown]
	v_mul_f64_e32 v[90:91], s[34:35], v[92:93]
	s_delay_alu instid0(VALU_DEP_4)
	v_add_f64_e32 v[0:1], v[4:5], v[0:1]
	v_fma_f64 v[4:5], v[130:131], s[2:3], -v[210:211]
	v_add_f64_e32 v[2:3], v[6:7], v[2:3]
	v_fma_f64 v[6:7], v[144:145], s[26:27], v[212:213]
	v_add_f64_e64 v[130:131], v[64:65], -v[44:45]
	v_mul_f64_e32 v[144:145], s[22:23], v[128:129]
	v_add_f64_e32 v[176:177], v[4:5], v[0:1]
	v_fma_f64 v[0:1], v[146:147], s[2:3], -v[154:155]
	v_add_f64_e32 v[178:179], v[6:7], v[2:3]
	v_fma_f64 v[2:3], v[88:89], s[16:17], -v[90:91]
	v_fma_f64 v[4:5], v[158:159], s[44:45], v[160:161]
	ds_store_b128 v134, v[172:175] offset:160
	v_fma_f64 v[6:7], v[120:121], s[22:23], -v[122:123]
	v_add_f64_e32 v[0:1], v[40:41], v[0:1]
	ds_store_b128 v134, v[176:179] offset:176
	v_mul_f64_e32 v[133:134], s[20:21], v[114:115]
	v_add_f64_e32 v[0:1], v[2:3], v[0:1]
	v_add_f64_e32 v[2:3], v[42:43], v[4:5]
	v_fma_f64 v[4:5], v[124:125], s[34:35], v[126:127]
	s_delay_alu instid0(VALU_DEP_3) | instskip(SKIP_1) | instid1(VALU_DEP_3)
	v_add_f64_e32 v[0:1], v[6:7], v[0:1]
	v_fma_f64 v[6:7], v[102:103], s[20:21], -v[104:105]
	v_add_f64_e32 v[2:3], v[4:5], v[2:3]
	v_fma_f64 v[4:5], v[130:131], s[36:37], v[144:145]
	s_delay_alu instid0(VALU_DEP_3) | instskip(NEXT) | instid1(VALU_DEP_2)
	v_add_f64_e32 v[0:1], v[6:7], v[0:1]
	v_add_f64_e32 v[2:3], v[4:5], v[2:3]
	v_fma_f64 v[4:5], v[118:119], s[12:13], v[133:134]
	s_delay_alu instid0(VALU_DEP_1) | instskip(SKIP_1) | instid1(VALU_DEP_1)
	v_add_f64_e32 v[2:3], v[4:5], v[2:3]
	v_fma_f64 v[4:5], v[94:95], s[18:19], -v[96:97]
	v_add_f64_e32 v[0:1], v[4:5], v[0:1]
	v_fma_f64 v[4:5], v[108:109], s[8:9], v[110:111]
	s_delay_alu instid0(VALU_DEP_1) | instskip(SKIP_1) | instid1(VALU_DEP_1)
	v_add_f64_e32 v[2:3], v[4:5], v[2:3]
	v_fma_f64 v[4:5], v[76:77], s[14:15], -v[78:79]
	v_add_f64_e32 v[52:53], v[4:5], v[0:1]
	v_fma_f64 v[0:1], v[84:85], s[24:25], v[82:83]
	s_delay_alu instid0(VALU_DEP_1)
	v_add_f64_e32 v[54:55], v[0:1], v[2:3]
	s_and_saveexec_b32 s1, vcc_lo
	s_cbranch_execz .LBB0_17
; %bb.16:
	v_add_f64_e32 v[0:1], v[42:43], v[150:151]
	v_add_f64_e32 v[2:3], v[40:41], v[148:149]
	v_mul_f64_e32 v[4:5], s[24:25], v[158:159]
	v_mul_f64_e32 v[6:7], s[8:9], v[158:159]
	;; [unrolled: 1-line block ×23, first 2 shown]
	v_add_f64_e32 v[0:1], v[0:1], v[70:71]
	v_add_f64_e32 v[2:3], v[2:3], v[68:69]
	v_mul_f64_e32 v[68:69], s[44:45], v[158:159]
	v_mul_f64_e32 v[70:71], s[24:25], v[152:153]
	v_fma_f64 v[166:167], v[128:129], s[14:15], v[164:165]
	v_fma_f64 v[172:173], v[116:117], s[22:23], v[170:171]
	v_fma_f64 v[170:171], v[116:117], s[22:23], -v[170:171]
	v_fma_f64 v[176:177], v[116:117], s[18:19], v[174:175]
	v_fma_f64 v[174:175], v[116:117], s[18:19], -v[174:175]
	;; [unrolled: 2-line block ×7, first 2 shown]
	v_fma_f64 v[202:203], v[88:89], s[14:15], v[202:203]
	v_fma_f64 v[218:219], v[114:115], s[14:15], v[216:217]
	v_fma_f64 v[216:217], v[114:115], s[14:15], -v[216:217]
	v_fma_f64 v[222:223], v[114:115], s[22:23], v[220:221]
	v_fma_f64 v[220:221], v[114:115], s[22:23], -v[220:221]
	v_fma_f64 v[226:227], v[114:115], s[2:3], v[224:225]
	v_fma_f64 v[224:225], v[114:115], s[2:3], -v[224:225]
	v_fma_f64 v[230:231], v[114:115], s[18:19], v[228:229]
	v_fma_f64 v[240:241], v[102:103], s[22:23], -v[232:233]
	v_fma_f64 v[232:233], v[102:103], s[22:23], v[232:233]
	v_fma_f64 v[242:243], v[102:103], s[2:3], -v[234:235]
	v_fma_f64 v[234:235], v[102:103], s[2:3], v[234:235]
	v_fma_f64 v[250:251], v[106:107], s[2:3], v[248:249]
	v_fma_f64 v[248:249], v[106:107], s[2:3], -v[248:249]
	v_fma_f64 v[254:255], v[106:107], s[14:15], v[252:253]
	v_fma_f64 v[252:253], v[106:107], s[14:15], -v[252:253]
	;; [unrolled: 2-line block ×3, first 2 shown]
	v_fma_f64 v[14:15], v[106:107], s[22:23], v[12:13]
	v_add_f64_e32 v[0:1], v[0:1], v[66:67]
	v_add_f64_e32 v[2:3], v[2:3], v[64:65]
	v_mul_f64_e32 v[64:65], s[34:35], v[158:159]
	v_add_f64_e64 v[68:69], v[160:161], -v[68:69]
	v_fma_f64 v[12:13], v[106:107], s[22:23], -v[12:13]
	v_fma_f64 v[24:25], v[94:95], s[14:15], -v[16:17]
	v_fma_f64 v[16:17], v[94:95], s[14:15], v[16:17]
	v_fma_f64 v[26:27], v[94:95], s[16:17], -v[18:19]
	v_fma_f64 v[18:19], v[94:95], s[16:17], v[18:19]
	v_add_f64_e32 v[0:1], v[0:1], v[74:75]
	v_add_f64_e32 v[2:3], v[2:3], v[72:73]
	v_mul_f64_e32 v[72:73], s[8:9], v[152:153]
	v_mul_f64_e32 v[74:75], s[12:13], v[152:153]
	v_fma_f64 v[66:67], v[156:157], s[16:17], v[64:65]
	v_fma_f64 v[64:65], v[156:157], s[16:17], -v[64:65]
	v_add_f64_e32 v[0:1], v[0:1], v[62:63]
	v_add_f64_e32 v[2:3], v[2:3], v[60:61]
	v_mul_f64_e32 v[60:61], s[36:37], v[158:159]
	v_fma_f64 v[148:149], v[146:147], s[20:21], -v[74:75]
	v_fma_f64 v[74:75], v[146:147], s[20:21], v[74:75]
	v_add_f64_e32 v[66:67], v[42:43], v[66:67]
	v_add_f64_e32 v[64:65], v[42:43], v[64:65]
	v_add_f64_e32 v[0:1], v[0:1], v[142:143]
	v_add_f64_e32 v[2:3], v[2:3], v[140:141]
	v_fma_f64 v[62:63], v[156:157], s[22:23], v[60:61]
	v_fma_f64 v[60:61], v[156:157], s[22:23], -v[60:61]
	v_fma_f64 v[140:141], v[146:147], s[14:15], -v[70:71]
	v_fma_f64 v[70:71], v[146:147], s[14:15], v[70:71]
	v_fma_f64 v[142:143], v[146:147], s[18:19], -v[72:73]
	v_fma_f64 v[72:73], v[146:147], s[18:19], v[72:73]
	v_add_f64_e32 v[148:149], v[40:41], v[148:149]
	v_add_f64_e32 v[74:75], v[40:41], v[74:75]
	v_add_f64_e32 v[66:67], v[184:185], v[66:67]
	v_add_f64_e32 v[0:1], v[0:1], v[58:59]
	v_add_f64_e32 v[2:3], v[2:3], v[56:57]
	v_mul_f64_e32 v[56:57], s[12:13], v[158:159]
	v_add_f64_e32 v[62:63], v[42:43], v[62:63]
	v_add_f64_e32 v[60:61], v[42:43], v[60:61]
	v_mul_f64_e32 v[158:159], s[42:43], v[130:131]
	v_add_f64_e32 v[140:141], v[40:41], v[140:141]
	v_add_f64_e32 v[70:71], v[40:41], v[70:71]
	;; [unrolled: 1-line block ×8, first 2 shown]
	v_mul_f64_e32 v[136:137], s[36:37], v[152:153]
	v_mul_f64_e32 v[138:139], s[34:35], v[152:153]
	v_fma_f64 v[58:59], v[156:157], s[20:21], v[56:57]
	v_fma_f64 v[56:57], v[156:157], s[20:21], -v[56:57]
	v_fma_f64 v[160:161], v[128:129], s[20:21], v[158:159]
	v_fma_f64 v[158:159], v[128:129], s[20:21], -v[158:159]
	v_add_f64_e32 v[60:61], v[178:179], v[60:61]
	v_add_f64_e32 v[72:73], v[198:199], v[72:73]
	;; [unrolled: 1-line block ×6, first 2 shown]
	v_fma_f64 v[48:49], v[156:157], s[14:15], v[4:5]
	v_fma_f64 v[4:5], v[156:157], s[14:15], -v[4:5]
	v_fma_f64 v[50:51], v[156:157], s[18:19], v[6:7]
	v_fma_f64 v[6:7], v[156:157], s[18:19], -v[6:7]
	v_fma_f64 v[150:151], v[146:147], s[22:23], -v[136:137]
	v_fma_f64 v[136:137], v[146:147], s[22:23], v[136:137]
	v_fma_f64 v[152:153], v[146:147], s[16:17], -v[138:139]
	v_fma_f64 v[138:139], v[146:147], s[16:17], v[138:139]
	v_mul_f64_e32 v[146:147], s[2:3], v[146:147]
	v_add_f64_e32 v[58:59], v[42:43], v[58:59]
	v_add_f64_e32 v[56:57], v[42:43], v[56:57]
	;; [unrolled: 1-line block ×12, first 2 shown]
	v_mul_f64_e32 v[44:45], s[8:9], v[130:131]
	v_mul_f64_e32 v[68:69], s[34:35], v[130:131]
	v_add_f64_e32 v[150:151], v[40:41], v[150:151]
	v_add_f64_e32 v[146:147], v[146:147], v[154:155]
	v_mul_f64_e32 v[154:155], s[26:27], v[130:131]
	v_add_f64_e32 v[136:137], v[40:41], v[136:137]
	v_add_f64_e32 v[152:153], v[40:41], v[152:153]
	;; [unrolled: 1-line block ×3, first 2 shown]
	v_mul_f64_e32 v[130:131], s[36:37], v[130:131]
	v_add_f64_e32 v[56:57], v[174:175], v[56:57]
	v_add_f64_e32 v[58:59], v[176:177], v[58:59]
	;; [unrolled: 1-line block ×8, first 2 shown]
	v_fma_f64 v[46:47], v[128:129], s[18:19], v[44:45]
	v_fma_f64 v[44:45], v[128:129], s[18:19], -v[44:45]
	v_add_f64_e32 v[40:41], v[40:41], v[146:147]
	v_fma_f64 v[146:147], v[128:129], s[16:17], v[68:69]
	v_fma_f64 v[68:69], v[128:129], s[16:17], -v[68:69]
	v_fma_f64 v[156:157], v[128:129], s[2:3], v[154:155]
	v_fma_f64 v[154:155], v[128:129], s[2:3], -v[154:155]
	v_fma_f64 v[128:129], v[128:129], s[14:15], -v[164:165]
	v_mul_f64_e32 v[164:165], s[26:27], v[124:125]
	v_mul_f64_e32 v[124:125], s[34:35], v[124:125]
	v_add_f64_e64 v[130:131], v[144:145], -v[130:131]
	v_mul_f64_e32 v[144:145], s[34:35], v[112:113]
	v_add_f64_e32 v[8:9], v[8:9], v[60:61]
	v_add_f64_e32 v[10:11], v[10:11], v[62:63]
	;; [unrolled: 1-line block ×3, first 2 shown]
	s_clause 0x1
	scratch_load_b32 v0, off, off offset:16
	scratch_load_b32 v1, off, off offset:1196 th:TH_LOAD_LU
	v_add_f64_e32 v[32:33], v[2:3], v[32:33]
	v_add_f64_e32 v[50:51], v[146:147], v[50:51]
	;; [unrolled: 1-line block ×5, first 2 shown]
	v_fma_f64 v[168:169], v[116:117], s[2:3], v[164:165]
	v_fma_f64 v[164:165], v[116:117], s[2:3], -v[164:165]
	v_fma_f64 v[116:117], v[116:117], s[20:21], -v[182:183]
	v_add_f64_e64 v[124:125], v[126:127], -v[124:125]
	v_mul_f64_e32 v[126:127], s[8:9], v[112:113]
	v_mul_f64_e32 v[182:183], s[26:27], v[112:113]
	;; [unrolled: 1-line block ×3, first 2 shown]
	v_fma_f64 v[190:191], v[120:121], s[16:17], -v[144:145]
	v_fma_f64 v[144:145], v[120:121], s[16:17], v[144:145]
	v_add_f64_e32 v[50:51], v[218:219], v[50:51]
	v_add_f64_e32 v[6:7], v[216:217], v[6:7]
	v_add_f64_e32 v[58:59], v[222:223], v[58:59]
	v_add_f64_e32 v[56:57], v[220:221], v[56:57]
	v_add_f64_e32 v[48:49], v[168:169], v[48:49]
	v_add_f64_e32 v[4:5], v[164:165], v[4:5]
	v_add_f64_e32 v[64:65], v[116:117], v[64:65]
	v_add_f64_e32 v[116:117], v[208:209], v[148:149]
	v_fma_f64 v[188:189], v[120:121], s[18:19], -v[126:127]
	v_fma_f64 v[126:127], v[120:121], s[18:19], v[126:127]
	v_fma_f64 v[192:193], v[120:121], s[2:3], -v[182:183]
	v_fma_f64 v[182:183], v[120:121], s[2:3], v[182:183]
	;; [unrolled: 2-line block ×3, first 2 shown]
	v_mul_f64_e32 v[120:121], s[22:23], v[120:121]
	v_add_f64_e32 v[42:43], v[124:125], v[42:43]
	v_mul_f64_e32 v[148:149], s[28:29], v[84:85]
	v_mul_f64_e32 v[168:169], s[26:27], v[84:85]
	v_add_f64_e32 v[68:69], v[144:145], v[72:73]
	v_add_f64_e32 v[6:7], v[248:249], v[6:7]
	;; [unrolled: 1-line block ×9, first 2 shown]
	v_mul_f64_e32 v[122:123], s[26:27], v[92:93]
	v_mul_f64_e32 v[92:93], s[12:13], v[92:93]
	v_add_f64_e32 v[42:43], v[130:131], v[42:43]
	v_fma_f64 v[170:171], v[86:87], s[2:3], v[168:169]
	v_add_f64_e32 v[74:75], v[232:233], v[74:75]
	v_fma_f64 v[204:205], v[88:89], s[2:3], -v[122:123]
	v_fma_f64 v[122:123], v[88:89], s[2:3], v[122:123]
	v_fma_f64 v[212:213], v[88:89], s[20:21], -v[92:93]
	v_fma_f64 v[92:93], v[88:89], s[20:21], v[92:93]
	v_mul_f64_e32 v[88:89], s[16:17], v[88:89]
	v_add_f64_e32 v[16:17], v[16:17], v[74:75]
	v_add_f64_e32 v[70:71], v[122:123], v[70:71]
	;; [unrolled: 1-line block ×5, first 2 shown]
	v_mul_f64_e32 v[90:91], s[28:29], v[118:119]
	v_mul_f64_e32 v[118:119], s[12:13], v[118:119]
	v_add_f64_e32 v[136:137], v[210:211], v[150:151]
	v_add_f64_e32 v[138:139], v[212:213], v[152:153]
	v_mul_f64_e32 v[152:153], s[8:9], v[84:85]
	v_fma_f64 v[150:151], v[86:87], s[16:17], v[148:149]
	v_fma_f64 v[148:149], v[86:87], s[16:17], -v[148:149]
	v_add_f64_e32 v[44:45], v[126:127], v[70:71]
	v_add_f64_e32 v[72:73], v[112:113], v[92:93]
	;; [unrolled: 1-line block ×3, first 2 shown]
	v_fma_f64 v[214:215], v[114:115], s[16:17], v[90:91]
	v_fma_f64 v[90:91], v[114:115], s[16:17], -v[90:91]
	v_fma_f64 v[114:115], v[114:115], s[18:19], -v[228:229]
	v_add_f64_e64 v[118:119], v[133:134], -v[118:119]
	v_mul_f64_e32 v[133:134], s[28:29], v[98:99]
	v_mul_f64_e32 v[228:229], s[38:39], v[98:99]
	;; [unrolled: 1-line block ×4, first 2 shown]
	v_add_f64_e32 v[92:93], v[186:187], v[122:123]
	v_add_f64_e32 v[112:113], v[196:197], v[138:139]
	v_fma_f64 v[164:165], v[86:87], s[18:19], v[152:153]
	v_fma_f64 v[152:153], v[86:87], s[18:19], -v[152:153]
	v_add_f64_e32 v[62:63], v[148:149], v[56:57]
	v_add_f64_e32 v[58:59], v[150:151], v[58:59]
	;; [unrolled: 1-line block ×7, first 2 shown]
	v_fma_f64 v[236:237], v[102:103], s[16:17], -v[133:134]
	v_fma_f64 v[133:134], v[102:103], s[16:17], v[133:134]
	v_fma_f64 v[238:239], v[102:103], s[14:15], -v[228:229]
	v_fma_f64 v[228:229], v[102:103], s[14:15], v[228:229]
	;; [unrolled: 2-line block ×3, first 2 shown]
	v_mul_f64_e32 v[102:103], s[20:21], v[102:103]
	v_fma_f64 v[124:125], v[86:87], s[22:23], v[88:89]
	v_fma_f64 v[88:89], v[86:87], s[22:23], -v[88:89]
	v_add_f64_e32 v[66:67], v[152:153], v[8:9]
	v_add_f64_e32 v[74:75], v[164:165], v[10:11]
	;; [unrolled: 1-line block ×7, first 2 shown]
	v_mul_f64_e32 v[104:105], s[12:13], v[108:109]
	v_mul_f64_e32 v[98:99], s[30:31], v[80:81]
	s_wait_loadcnt 0x0
	v_lshl_add_u32 v0, v1, 4, v0
	s_delay_alu instid0(VALU_DEP_4) | instskip(NEXT) | instid1(VALU_DEP_4)
	v_add_f64_e32 v[40:41], v[102:103], v[40:41]
	v_fma_f64 v[246:247], v[106:107], s[20:21], v[104:105]
	v_fma_f64 v[104:105], v[106:107], s[20:21], -v[104:105]
	v_mul_f64_e32 v[106:107], s[8:9], v[108:109]
	v_mul_f64_e32 v[108:109], s[12:13], v[100:101]
	;; [unrolled: 1-line block ×3, first 2 shown]
	v_fma_f64 v[114:115], v[76:77], s[22:23], -v[98:99]
	v_fma_f64 v[98:99], v[76:77], s[22:23], v[98:99]
	v_add_f64_e32 v[46:47], v[246:247], v[46:47]
	v_add_f64_e32 v[4:5], v[104:105], v[4:5]
	v_add_f64_e64 v[106:107], v[110:111], -v[106:107]
	v_mul_f64_e32 v[110:111], s[26:27], v[100:101]
	v_mul_f64_e32 v[100:101], s[30:31], v[100:101]
	v_fma_f64 v[20:21], v[94:95], s[20:21], -v[108:109]
	v_fma_f64 v[22:23], v[94:95], s[20:21], v[108:109]
	v_fma_f64 v[118:119], v[76:77], s[16:17], -v[102:103]
	v_fma_f64 v[102:103], v[76:77], s[16:17], v[102:103]
	v_add_f64_e32 v[38:39], v[124:125], v[46:47]
	v_fma_f64 v[108:109], v[94:95], s[2:3], -v[110:111]
	v_fma_f64 v[110:111], v[94:95], s[2:3], v[110:111]
	v_fma_f64 v[28:29], v[94:95], s[22:23], -v[100:101]
	v_fma_f64 v[30:31], v[94:95], s[22:23], v[100:101]
	v_mul_f64_e32 v[94:95], s[18:19], v[94:95]
	v_add_f64_e32 v[100:101], v[206:207], v[142:143]
	v_add_f64_e32 v[22:23], v[22:23], v[44:45]
	;; [unrolled: 1-line block ×8, first 2 shown]
	v_mul_f64_e32 v[140:141], s[12:13], v[84:85]
	v_add_f64_e32 v[70:71], v[190:191], v[100:101]
	v_add_f64_e32 v[100:101], v[194:195], v[136:137]
	v_mul_f64_e32 v[84:85], s[24:25], v[84:85]
	v_add_f64_e32 v[48:49], v[188:189], v[96:97]
	v_add_f64_e32 v[96:97], v[192:193], v[116:117]
	;; [unrolled: 1-line block ×3, first 2 shown]
	v_fma_f64 v[142:143], v[86:87], s[20:21], v[140:141]
	v_add_f64_e64 v[82:83], v[82:83], -v[84:85]
	v_add_f64_e32 v[84:85], v[234:235], v[92:93]
	v_add_f64_e32 v[92:93], v[242:243], v[100:101]
	v_mul_f64_e32 v[100:101], s[12:13], v[80:81]
	v_fma_f64 v[140:141], v[86:87], s[20:21], -v[140:141]
	v_fma_f64 v[86:87], v[86:87], s[2:3], -v[168:169]
	v_add_f64_e32 v[48:49], v[236:237], v[48:49]
	v_add_f64_e32 v[90:91], v[240:241], v[96:97]
	;; [unrolled: 1-line block ×3, first 2 shown]
	v_mul_f64_e32 v[112:113], s[8:9], v[80:81]
	v_mul_f64_e32 v[80:81], s[26:27], v[80:81]
	v_add_f64_e32 v[18:19], v[18:19], v[84:85]
	v_add_f64_e32 v[26:27], v[26:27], v[92:93]
	v_fma_f64 v[116:117], v[76:77], s[20:21], -v[100:101]
	v_fma_f64 v[100:101], v[76:77], s[20:21], v[100:101]
	v_add_f64_e32 v[84:85], v[106:107], v[42:43]
	v_add_f64_e32 v[46:47], v[142:143], v[44:45]
	v_add_f64_e32 v[50:51], v[140:141], v[6:7]
	v_add_f64_e32 v[42:43], v[88:89], v[4:5]
	v_add_f64_e32 v[20:21], v[20:21], v[48:49]
	v_add_f64_e32 v[48:49], v[108:109], v[70:71]
	v_add_f64_e32 v[24:25], v[24:25], v[90:91]
	v_fma_f64 v[120:121], v[76:77], s[18:19], -v[112:113]
	v_fma_f64 v[112:113], v[76:77], s[18:19], v[112:113]
	v_fma_f64 v[122:123], v[76:77], s[2:3], -v[80:81]
	v_fma_f64 v[80:81], v[76:77], s[2:3], v[80:81]
	v_mul_f64_e32 v[76:77], s[14:15], v[76:77]
	v_add_f64_e32 v[28:29], v[28:29], v[96:97]
	v_add_f64_e32 v[90:91], v[94:95], v[40:41]
	;; [unrolled: 1-line block ×15, first 2 shown]
	s_delay_alu instid0(VALU_DEP_3)
	v_add_f64_e32 v[80:81], v[126:127], v[90:91]
	ds_store_b128 v0, v[68:71] offset:32
	ds_store_b128 v0, v[64:67] offset:48
	;; [unrolled: 1-line block ×11, first 2 shown]
	ds_store_b128 v0, v[32:35]
	ds_store_b128 v0, v[52:55] offset:192
.LBB0_17:
	s_wait_alu 0xfffe
	s_or_b32 exec_lo, exec_lo, s1
	global_wb scope:SCOPE_SE
	s_wait_dscnt 0x0
	s_barrier_signal -1
	s_barrier_wait -1
	global_inv scope:SCOPE_SE
	ds_load_b128 v[32:35], v162 offset:6240
	ds_load_b128 v[36:39], v162 offset:9360
	s_clause 0x1
	scratch_load_b128 v[8:11], off, off offset:356 th:TH_LOAD_LU
	scratch_load_b128 v[14:17], off, off offset:404 th:TH_LOAD_LU
	ds_load_b128 v[40:43], v162 offset:3120
	ds_load_b128 v[124:127], v162
	ds_load_b128 v[140:143], v162 offset:1248
	s_mov_b32 s2, 0x134454ff
	s_mov_b32 s3, 0xbfee6f0e
	;; [unrolled: 1-line block ×6, first 2 shown]
	s_wait_alu 0xfffe
	s_mov_b32 s14, s2
	s_mov_b32 s17, 0x3fd3c6ef
	;; [unrolled: 1-line block ×4, first 2 shown]
	ds_load_b128 v[44:47], v162 offset:13104
	ds_load_b128 v[60:63], v162 offset:5616
	;; [unrolled: 1-line block ×6, first 2 shown]
	s_wait_loadcnt_dscnt 0x10a
	v_mul_f64_e32 v[0:1], v[10:11], v[34:35]
	v_mul_f64_e32 v[2:3], v[10:11], v[32:33]
	s_wait_loadcnt_dscnt 0x9
	v_mul_f64_e32 v[4:5], v[16:17], v[38:39]
	v_mul_f64_e32 v[6:7], v[16:17], v[36:37]
	s_clause 0x1
	scratch_load_b128 v[10:13], off, off offset:260 th:TH_LOAD_LU
	scratch_load_b128 v[16:19], off, off offset:372 th:TH_LOAD_LU
	v_fma_f64 v[98:99], v[8:9], v[32:33], v[0:1]
	v_fma_f64 v[104:105], v[8:9], v[34:35], -v[2:3]
	ds_load_b128 v[32:35], v162 offset:12480
	v_fma_f64 v[96:97], v[14:15], v[36:37], v[4:5]
	v_fma_f64 v[94:95], v[14:15], v[38:39], -v[6:7]
	ds_load_b128 v[36:39], v162 offset:6864
	s_wait_loadcnt_dscnt 0x1
	v_mul_f64_e32 v[4:5], v[18:19], v[34:35]
	v_mul_f64_e32 v[6:7], v[18:19], v[32:33]
	s_delay_alu instid0(VALU_DEP_2) | instskip(NEXT) | instid1(VALU_DEP_2)
	v_fma_f64 v[102:103], v[16:17], v[32:33], v[4:5]
	v_fma_f64 v[100:101], v[16:17], v[34:35], -v[6:7]
	ds_load_b128 v[32:35], v162 offset:3744
	v_mul_f64_e32 v[0:1], v[12:13], v[42:43]
	v_mul_f64_e32 v[2:3], v[12:13], v[40:41]
	s_clause 0x1
	scratch_load_b128 v[12:15], off, off offset:340 th:TH_LOAD_LU
	scratch_load_b128 v[16:19], off, off offset:420 th:TH_LOAD_LU
	v_add_f64_e64 v[28:29], v[96:97], -v[102:103]
	v_fma_f64 v[108:109], v[10:11], v[40:41], v[0:1]
	v_fma_f64 v[106:107], v[10:11], v[42:43], -v[2:3]
	ds_load_b128 v[40:43], v162 offset:9984
	s_wait_loadcnt_dscnt 0x102
	v_mul_f64_e32 v[8:9], v[14:15], v[38:39]
	v_mul_f64_e32 v[0:1], v[14:15], v[36:37]
	s_wait_loadcnt_dscnt 0x0
	v_mul_f64_e32 v[2:3], v[18:19], v[42:43]
	v_mul_f64_e32 v[4:5], v[18:19], v[40:41]
	scratch_load_b128 v[18:21], off, off offset:324 th:TH_LOAD_LU ; 16-byte Folded Reload
	v_fma_f64 v[36:37], v[12:13], v[36:37], v[8:9]
	v_fma_f64 v[110:111], v[12:13], v[38:39], -v[0:1]
	scratch_load_b128 v[10:13], off, off offset:244 th:TH_LOAD_LU ; 16-byte Folded Reload
	v_fma_f64 v[66:67], v[16:17], v[40:41], v[2:3]
	v_fma_f64 v[112:113], v[16:17], v[42:43], -v[4:5]
	ds_load_b128 v[38:41], v162 offset:4368
	s_wait_loadcnt 0x0
	v_mul_f64_e32 v[0:1], v[12:13], v[34:35]
	v_mul_f64_e32 v[6:7], v[12:13], v[32:33]
	scratch_load_b128 v[12:15], off, off offset:388 th:TH_LOAD_LU ; 16-byte Folded Reload
	v_fma_f64 v[72:73], v[10:11], v[32:33], v[0:1]
	v_fma_f64 v[114:115], v[10:11], v[34:35], -v[6:7]
	ds_load_b128 v[32:35], v162 offset:7488
	v_add_f64_e64 v[30:31], v[114:115], -v[110:111]
	s_wait_loadcnt 0x0
	v_mul_f64_e32 v[8:9], v[14:15], v[46:47]
	v_mul_f64_e32 v[2:3], v[14:15], v[44:45]
	scratch_load_b128 v[14:17], off, off offset:292 th:TH_LOAD_LU ; 16-byte Folded Reload
	v_fma_f64 v[76:77], v[12:13], v[44:45], v[8:9]
	v_fma_f64 v[88:89], v[12:13], v[46:47], -v[2:3]
	scratch_load_b128 v[10:13], off, off offset:308 th:TH_LOAD_LU ; 16-byte Folded Reload
	ds_load_b128 v[42:45], v162 offset:10608
	v_add_f64_e32 v[22:23], v[114:115], v[88:89]
	s_wait_loadcnt_dscnt 0x1
	v_mul_f64_e32 v[2:3], v[12:13], v[34:35]
	v_mul_f64_e32 v[6:7], v[12:13], v[32:33]
	s_delay_alu instid0(VALU_DEP_2) | instskip(NEXT) | instid1(VALU_DEP_2)
	v_fma_f64 v[86:87], v[10:11], v[32:33], v[2:3]
	v_fma_f64 v[82:83], v[10:11], v[34:35], -v[6:7]
	scratch_load_b128 v[10:13], off, off offset:276 th:TH_LOAD_LU ; 16-byte Folded Reload
	ds_load_b128 v[32:35], v162 offset:4992
	v_mul_f64_e32 v[0:1], v[20:21], v[40:41]
	v_mul_f64_e32 v[4:5], v[20:21], v[38:39]
	v_add_f64_e32 v[20:21], v[110:111], v[112:113]
	s_delay_alu instid0(VALU_DEP_3) | instskip(NEXT) | instid1(VALU_DEP_3)
	v_fma_f64 v[78:79], v[18:19], v[38:39], v[0:1]
	v_fma_f64 v[74:75], v[18:19], v[40:41], -v[4:5]
	ds_load_b128 v[38:41], v162 offset:13728
	s_wait_dscnt 0x2
	v_mul_f64_e32 v[8:9], v[16:17], v[44:45]
	v_mul_f64_e32 v[0:1], v[16:17], v[42:43]
	s_delay_alu instid0(VALU_DEP_2) | instskip(NEXT) | instid1(VALU_DEP_2)
	v_fma_f64 v[84:85], v[14:15], v[42:43], v[8:9]
	v_fma_f64 v[80:81], v[14:15], v[44:45], -v[0:1]
	ds_load_b128 v[44:47], v162 offset:8112
	s_wait_loadcnt_dscnt 0x1
	v_mul_f64_e32 v[2:3], v[12:13], v[40:41]
	v_mul_f64_e32 v[4:5], v[12:13], v[38:39]
	scratch_load_b128 v[12:15], off, off offset:488 th:TH_LOAD_LU ; 16-byte Folded Reload
	v_fma_f64 v[92:93], v[10:11], v[38:39], v[2:3]
	v_fma_f64 v[90:91], v[10:11], v[40:41], -v[4:5]
	s_wait_loadcnt 0x0
	v_mul_f64_e32 v[0:1], v[14:15], v[34:35]
	v_mul_f64_e32 v[6:7], v[14:15], v[32:33]
	scratch_load_b128 v[14:17], off, off offset:520 th:TH_LOAD_LU ; 16-byte Folded Reload
	v_fma_f64 v[42:43], v[12:13], v[32:33], v[0:1]
	v_fma_f64 v[40:41], v[12:13], v[34:35], -v[6:7]
	scratch_load_b128 v[10:13], off, off offset:504 th:TH_LOAD_LU ; 16-byte Folded Reload
	ds_load_b128 v[32:35], v162 offset:14352
	s_wait_loadcnt_dscnt 0x101
	v_mul_f64_e32 v[8:9], v[16:17], v[46:47]
	v_mul_f64_e32 v[2:3], v[16:17], v[44:45]
	s_wait_loadcnt 0x0
	v_mul_f64_e32 v[0:1], v[12:13], v[58:59]
	v_mul_f64_e32 v[4:5], v[12:13], v[56:57]
	s_delay_alu instid0(VALU_DEP_4) | instskip(NEXT) | instid1(VALU_DEP_4)
	v_fma_f64 v[50:51], v[14:15], v[44:45], v[8:9]
	v_fma_f64 v[44:45], v[14:15], v[46:47], -v[2:3]
	scratch_load_b128 v[12:15], off, off offset:536 th:TH_LOAD_LU ; 16-byte Folded Reload
	v_fma_f64 v[48:49], v[10:11], v[56:57], v[0:1]
	v_fma_f64 v[46:47], v[10:11], v[58:59], -v[4:5]
	s_wait_loadcnt_dscnt 0x0
	v_mul_f64_e32 v[2:3], v[14:15], v[34:35]
	v_mul_f64_e32 v[6:7], v[14:15], v[32:33]
	scratch_load_b128 v[14:17], off, off offset:552 th:TH_LOAD_LU ; 16-byte Folded Reload
	v_fma_f64 v[58:59], v[12:13], v[32:33], v[2:3]
	v_fma_f64 v[56:57], v[12:13], v[34:35], -v[6:7]
	scratch_load_b128 v[10:13], off, off offset:440 th:TH_LOAD_LU ; 16-byte Folded Reload
	s_wait_loadcnt 0x1
	v_mul_f64_e32 v[8:9], v[16:17], v[62:63]
	v_mul_f64_e32 v[0:1], v[16:17], v[60:61]
	scratch_load_b128 v[16:19], off, off offset:472 th:TH_LOAD_LU ; 16-byte Folded Reload
	s_wait_loadcnt 0x1
	v_mul_f64_e32 v[2:3], v[12:13], v[70:71]
	v_mul_f64_e32 v[4:5], v[12:13], v[68:69]
	v_fma_f64 v[32:33], v[14:15], v[60:61], v[8:9]
	v_fma_f64 v[34:35], v[14:15], v[62:63], -v[0:1]
	scratch_load_b128 v[12:15], off, off offset:456 th:TH_LOAD_LU ; 16-byte Folded Reload
	v_add_f64_e32 v[8:9], v[98:99], v[96:97]
	v_fma_f64 v[38:39], v[10:11], v[68:69], v[2:3]
	v_fma_f64 v[62:63], v[10:11], v[70:71], -v[4:5]
	v_add_f64_e32 v[10:11], v[104:105], v[94:95]
	s_delay_alu instid0(VALU_DEP_4) | instskip(NEXT) | instid1(VALU_DEP_2)
	v_fma_f64 v[8:9], v[8:9], -0.5, v[124:125]
	v_fma_f64 v[10:11], v[10:11], -0.5, v[126:127]
	s_wait_loadcnt 0x1
	v_mul_f64_e32 v[6:7], v[18:19], v[118:119]
	v_mul_f64_e32 v[0:1], v[18:19], v[116:117]
	v_add_f64_e32 v[18:19], v[72:73], v[76:77]
	s_delay_alu instid0(VALU_DEP_3) | instskip(NEXT) | instid1(VALU_DEP_3)
	v_fma_f64 v[64:65], v[16:17], v[116:117], v[6:7]
	v_fma_f64 v[60:61], v[16:17], v[118:119], -v[0:1]
	s_wait_loadcnt 0x0
	v_mul_f64_e32 v[2:3], v[14:15], v[122:123]
	v_add_f64_e64 v[116:117], v[106:107], -v[100:101]
	v_add_f64_e64 v[0:1], v[108:109], -v[98:99]
	;; [unrolled: 1-line block ×3, first 2 shown]
	v_mul_f64_e32 v[4:5], v[14:15], v[120:121]
	v_add_f64_e64 v[118:119], v[108:109], -v[102:103]
	v_add_f64_e32 v[16:17], v[36:37], v[66:67]
	v_fma_f64 v[70:71], v[12:13], v[120:121], v[2:3]
	v_add_f64_e64 v[2:3], v[104:105], -v[94:95]
	v_add_f64_e32 v[0:1], v[0:1], v[6:7]
	v_fma_f64 v[6:7], v[116:117], s[2:3], v[8:9]
	v_fma_f64 v[68:69], v[12:13], v[122:123], -v[4:5]
	v_add_f64_e64 v[4:5], v[106:107], -v[104:105]
	v_add_f64_e64 v[12:13], v[100:101], -v[94:95]
	s_wait_alu 0xfffe
	v_fma_f64 v[14:15], v[118:119], s[14:15], v[10:11]
	v_fma_f64 v[6:7], v[2:3], s[8:9], v[6:7]
	s_delay_alu instid0(VALU_DEP_3) | instskip(SKIP_1) | instid1(VALU_DEP_3)
	v_add_f64_e32 v[4:5], v[4:5], v[12:13]
	v_add_f64_e64 v[12:13], v[98:99], -v[96:97]
	v_fma_f64 v[120:121], v[0:1], s[16:17], v[6:7]
	v_fma_f64 v[6:7], v[116:117], s[14:15], v[8:9]
	;; [unrolled: 1-line block ×3, first 2 shown]
	v_add_f64_e64 v[10:11], v[98:99], -v[108:109]
	v_fma_f64 v[14:15], v[12:13], s[12:13], v[14:15]
	s_delay_alu instid0(VALU_DEP_4) | instskip(NEXT) | instid1(VALU_DEP_4)
	v_fma_f64 v[6:7], v[2:3], s[12:13], v[6:7]
	v_fma_f64 v[8:9], v[12:13], s[8:9], v[8:9]
	s_delay_alu instid0(VALU_DEP_4) | instskip(NEXT) | instid1(VALU_DEP_4)
	v_add_f64_e32 v[10:11], v[10:11], v[28:29]
	v_fma_f64 v[122:123], v[4:5], s[16:17], v[14:15]
	v_add_f64_e64 v[14:15], v[104:105], -v[106:107]
	v_fma_f64 v[128:129], v[0:1], s[16:17], v[6:7]
	v_fma_f64 v[130:131], v[4:5], s[16:17], v[8:9]
	v_add_f64_e32 v[8:9], v[126:127], v[106:107]
	v_add_f64_e32 v[0:1], v[108:109], v[102:103]
	v_add_f64_e32 v[4:5], v[106:107], v[100:101]
	v_add_f64_e32 v[6:7], v[124:125], v[108:109]
	v_add_f64_e64 v[108:109], v[112:113], -v[88:89]
	v_add_f64_e32 v[8:9], v[8:9], v[104:105]
	ds_load_b128 v[104:107], v162 offset:624
	v_fma_f64 v[0:1], v[0:1], -0.5, v[124:125]
	v_fma_f64 v[4:5], v[4:5], -0.5, v[126:127]
	v_add_f64_e32 v[6:7], v[6:7], v[98:99]
	s_wait_dscnt 0x0
	v_add_f64_e32 v[24:25], v[104:105], v[72:73]
	v_add_f64_e32 v[26:27], v[106:107], v[114:115]
	v_fma_f64 v[16:17], v[16:17], -0.5, v[104:105]
	v_fma_f64 v[18:19], v[18:19], -0.5, v[104:105]
	;; [unrolled: 1-line block ×4, first 2 shown]
	v_add_f64_e64 v[104:105], v[110:111], -v[112:113]
	v_add_f64_e64 v[106:107], v[88:89], -v[112:113]
	v_add_f64_e32 v[8:9], v[8:9], v[94:95]
	v_add_f64_e32 v[6:7], v[6:7], v[96:97]
	;; [unrolled: 1-line block ×3, first 2 shown]
	s_delay_alu instid0(VALU_DEP_3)
	v_add_f64_e32 v[98:99], v[8:9], v[100:101]
	v_fma_f64 v[8:9], v[2:3], s[14:15], v[0:1]
	v_fma_f64 v[0:1], v[2:3], s[2:3], v[0:1]
	;; [unrolled: 1-line block ×4, first 2 shown]
	v_add_f64_e32 v[12:13], v[26:27], v[110:111]
	v_add_f64_e32 v[96:97], v[6:7], v[102:103]
	v_add_f64_e64 v[6:7], v[94:95], -v[100:101]
	v_add_f64_e64 v[26:27], v[114:115], -v[88:89]
	;; [unrolled: 1-line block ×3, first 2 shown]
	v_add_f64_e32 v[24:25], v[24:25], v[66:67]
	v_fma_f64 v[8:9], v[116:117], s[8:9], v[8:9]
	v_fma_f64 v[0:1], v[116:117], s[12:13], v[0:1]
	v_fma_f64 v[2:3], v[118:119], s[12:13], v[2:3]
	v_fma_f64 v[4:5], v[118:119], s[8:9], v[4:5]
	v_add_f64_e32 v[12:13], v[12:13], v[112:113]
	v_add_f64_e32 v[6:7], v[14:15], v[6:7]
	;; [unrolled: 1-line block ×4, first 2 shown]
	v_add_f64_e64 v[24:25], v[36:37], -v[72:73]
	v_fma_f64 v[108:109], v[10:11], s[16:17], v[0:1]
	v_add_f64_e64 v[0:1], v[92:93], -v[84:85]
	v_add_f64_e32 v[102:103], v[12:13], v[88:89]
	v_add_f64_e64 v[12:13], v[72:73], -v[36:37]
	v_add_f64_e64 v[72:73], v[72:73], -v[76:77]
	;; [unrolled: 1-line block ×5, first 2 shown]
	v_fma_f64 v[66:67], v[104:105], s[14:15], v[18:19]
	v_fma_f64 v[18:19], v[104:105], s[2:3], v[18:19]
	;; [unrolled: 1-line block ×3, first 2 shown]
	v_add_f64_e64 v[4:5], v[74:75], -v[82:83]
	v_add_f64_e32 v[12:13], v[12:13], v[88:89]
	v_add_f64_e32 v[14:15], v[24:25], v[76:77]
	v_add_f64_e32 v[24:25], v[30:31], v[106:107]
	v_fma_f64 v[30:31], v[26:27], s[2:3], v[16:17]
	v_fma_f64 v[16:17], v[26:27], s[14:15], v[16:17]
	;; [unrolled: 1-line block ×5, first 2 shown]
	v_add_f64_e64 v[2:3], v[78:79], -v[86:87]
	v_fma_f64 v[88:89], v[36:37], s[2:3], v[22:23]
	v_fma_f64 v[22:23], v[36:37], s[14:15], v[22:23]
	;; [unrolled: 1-line block ×3, first 2 shown]
	v_add_f64_e64 v[6:7], v[90:91], -v[80:81]
	v_fma_f64 v[30:31], v[104:105], s[8:9], v[30:31]
	v_fma_f64 v[16:17], v[104:105], s[12:13], v[16:17]
	v_fma_f64 v[76:77], v[36:37], s[12:13], v[76:77]
	v_fma_f64 v[20:21], v[36:37], s[8:9], v[20:21]
	v_fma_f64 v[36:37], v[26:27], s[8:9], v[66:67]
	v_fma_f64 v[104:105], v[10:11], s[16:17], v[8:9]
	v_add_f64_e32 v[8:9], v[86:87], v[84:85]
	v_add_f64_e32 v[0:1], v[2:3], v[0:1]
	;; [unrolled: 1-line block ×3, first 2 shown]
	v_fma_f64 v[136:137], v[14:15], s[16:17], v[18:19]
	v_add_f64_e32 v[4:5], v[4:5], v[6:7]
	v_add_f64_e64 v[6:7], v[74:75], -v[90:91]
	v_add_f64_e64 v[10:11], v[82:83], -v[80:81]
	v_fma_f64 v[26:27], v[72:73], s[12:13], v[88:89]
	v_fma_f64 v[22:23], v[72:73], s[8:9], v[22:23]
	v_fma_f64 v[112:113], v[12:13], s[16:17], v[30:31]
	v_fma_f64 v[116:117], v[12:13], s[16:17], v[16:17]
	v_add_f64_e64 v[16:17], v[86:87], -v[84:85]
	v_fma_f64 v[118:119], v[24:25], s[16:17], v[20:21]
	v_fma_f64 v[124:125], v[14:15], s[16:17], v[36:37]
	v_add_f64_e64 v[14:15], v[78:79], -v[92:93]
	v_fma_f64 v[8:9], v[8:9], -0.5, v[140:141]
	v_add_f64_e64 v[20:21], v[84:85], -v[92:93]
	v_fma_f64 v[2:3], v[2:3], -0.5, v[142:143]
	v_fma_f64 v[114:115], v[24:25], s[16:17], v[76:77]
	v_fma_f64 v[126:127], v[28:29], s[16:17], v[26:27]
	;; [unrolled: 1-line block ×7, first 2 shown]
	s_delay_alu instid0(VALU_DEP_4) | instskip(NEXT) | instid1(VALU_DEP_4)
	v_fma_f64 v[12:13], v[10:11], s[8:9], v[12:13]
	v_fma_f64 v[8:9], v[10:11], s[12:13], v[8:9]
	s_delay_alu instid0(VALU_DEP_4) | instskip(NEXT) | instid1(VALU_DEP_4)
	v_fma_f64 v[18:19], v[16:17], s[12:13], v[18:19]
	v_fma_f64 v[2:3], v[16:17], s[8:9], v[2:3]
	;; [unrolled: 3-line block ×4, first 2 shown]
	v_add_f64_e32 v[4:5], v[140:141], v[78:79]
	v_add_f64_e32 v[8:9], v[142:143], v[74:75]
	;; [unrolled: 1-line block ×4, first 2 shown]
	v_add_f64_e64 v[12:13], v[86:87], -v[78:79]
	v_add_f64_e32 v[4:5], v[4:5], v[86:87]
	v_add_f64_e32 v[8:9], v[8:9], v[82:83]
	v_fma_f64 v[0:1], v[0:1], -0.5, v[140:141]
	v_fma_f64 v[2:3], v[2:3], -0.5, v[142:143]
	v_add_f64_e32 v[12:13], v[12:13], v[20:21]
	v_add_f64_e64 v[20:21], v[48:49], -v[58:59]
	v_add_f64_e32 v[4:5], v[4:5], v[84:85]
	v_add_f64_e32 v[8:9], v[8:9], v[80:81]
	v_fma_f64 v[18:19], v[10:11], s[14:15], v[0:1]
	v_fma_f64 v[0:1], v[10:11], s[2:3], v[0:1]
	v_add_f64_e64 v[10:11], v[82:83], -v[74:75]
	ds_load_b128 v[84:87], v162 offset:1872
	v_add_f64_e32 v[72:73], v[4:5], v[92:93]
	v_add_f64_e32 v[74:75], v[8:9], v[90:91]
	v_add_f64_e64 v[4:5], v[80:81], -v[90:91]
	v_fma_f64 v[8:9], v[16:17], s[2:3], v[2:3]
	v_fma_f64 v[2:3], v[16:17], s[14:15], v[2:3]
	;; [unrolled: 1-line block ×4, first 2 shown]
	v_add_f64_e64 v[6:7], v[42:43], -v[50:51]
	v_add_f64_e32 v[4:5], v[10:11], v[4:5]
	v_fma_f64 v[8:9], v[14:15], s[12:13], v[8:9]
	v_add_f64_e64 v[10:11], v[58:59], -v[48:49]
	v_fma_f64 v[2:3], v[14:15], s[8:9], v[2:3]
	v_add_f64_e64 v[14:15], v[40:41], -v[44:45]
	v_fma_f64 v[80:81], v[12:13], s[16:17], v[0:1]
	v_fma_f64 v[76:77], v[12:13], s[16:17], v[16:17]
	v_add_f64_e64 v[16:17], v[50:51], -v[48:49]
	v_fma_f64 v[78:79], v[4:5], s[16:17], v[8:9]
	v_add_f64_e32 v[8:9], v[50:51], v[48:49]
	v_add_f64_e32 v[6:7], v[6:7], v[10:11]
	v_add_f64_e64 v[10:11], v[56:57], -v[46:47]
	v_fma_f64 v[82:83], v[4:5], s[16:17], v[2:3]
	v_add_f64_e32 v[2:3], v[44:45], v[46:47]
	v_add_f64_e64 v[4:5], v[40:41], -v[56:57]
	s_wait_dscnt 0x0
	v_fma_f64 v[0:1], v[8:9], -0.5, v[84:85]
	v_add_f64_e64 v[8:9], v[44:45], -v[46:47]
	v_add_f64_e32 v[10:11], v[14:15], v[10:11]
	v_add_f64_e64 v[14:15], v[42:43], -v[58:59]
	v_fma_f64 v[2:3], v[2:3], -0.5, v[86:87]
	v_fma_f64 v[12:13], v[4:5], s[2:3], v[0:1]
	v_fma_f64 v[0:1], v[4:5], s[14:15], v[0:1]
	s_delay_alu instid0(VALU_DEP_3) | instskip(SKIP_1) | instid1(VALU_DEP_4)
	v_fma_f64 v[18:19], v[14:15], s[14:15], v[2:3]
	v_fma_f64 v[2:3], v[14:15], s[2:3], v[2:3]
	;; [unrolled: 1-line block ×3, first 2 shown]
	s_delay_alu instid0(VALU_DEP_4) | instskip(NEXT) | instid1(VALU_DEP_4)
	v_fma_f64 v[0:1], v[8:9], s[12:13], v[0:1]
	v_fma_f64 v[18:19], v[16:17], s[12:13], v[18:19]
	s_delay_alu instid0(VALU_DEP_4) | instskip(NEXT) | instid1(VALU_DEP_4)
	v_fma_f64 v[2:3], v[16:17], s[8:9], v[2:3]
	v_fma_f64 v[88:89], v[6:7], s[16:17], v[12:13]
	s_delay_alu instid0(VALU_DEP_4)
	v_fma_f64 v[92:93], v[6:7], s[16:17], v[0:1]
	v_add_f64_e32 v[0:1], v[42:43], v[58:59]
	v_add_f64_e32 v[6:7], v[84:85], v[42:43]
	v_fma_f64 v[90:91], v[10:11], s[16:17], v[18:19]
	v_fma_f64 v[94:95], v[10:11], s[16:17], v[2:3]
	v_add_f64_e32 v[10:11], v[86:87], v[40:41]
	v_add_f64_e32 v[2:3], v[40:41], v[56:57]
	v_add_f64_e64 v[12:13], v[50:51], -v[42:43]
	v_fma_f64 v[0:1], v[0:1], -0.5, v[84:85]
	v_add_f64_e32 v[6:7], v[6:7], v[50:51]
	s_delay_alu instid0(VALU_DEP_4) | instskip(NEXT) | instid1(VALU_DEP_4)
	v_fma_f64 v[2:3], v[2:3], -0.5, v[86:87]
	v_add_f64_e32 v[12:13], v[12:13], v[20:21]
	v_add_f64_e64 v[20:21], v[70:71], -v[64:65]
	v_fma_f64 v[18:19], v[8:9], s[14:15], v[0:1]
	v_fma_f64 v[0:1], v[8:9], s[2:3], v[0:1]
	v_add_f64_e32 v[8:9], v[10:11], v[44:45]
	v_add_f64_e32 v[6:7], v[6:7], v[48:49]
	v_add_f64_e64 v[10:11], v[44:45], -v[40:41]
	s_delay_alu instid0(VALU_DEP_4) | instskip(NEXT) | instid1(VALU_DEP_4)
	v_fma_f64 v[0:1], v[4:5], s[12:13], v[0:1]
	v_add_f64_e32 v[8:9], v[8:9], v[46:47]
	s_delay_alu instid0(VALU_DEP_4) | instskip(SKIP_1) | instid1(VALU_DEP_4)
	v_add_f64_e32 v[40:41], v[6:7], v[58:59]
	v_add_f64_e64 v[6:7], v[46:47], -v[56:57]
	v_fma_f64 v[48:49], v[12:13], s[16:17], v[0:1]
	s_delay_alu instid0(VALU_DEP_4)
	v_add_f64_e32 v[42:43], v[8:9], v[56:57]
	v_fma_f64 v[8:9], v[16:17], s[2:3], v[2:3]
	v_fma_f64 v[2:3], v[16:17], s[14:15], v[2:3]
	;; [unrolled: 1-line block ×3, first 2 shown]
	v_add_f64_e32 v[4:5], v[10:11], v[6:7]
	ds_load_b128 v[56:59], v162 offset:2496
	v_add_f64_e64 v[0:1], v[64:65], -v[70:71]
	v_add_f64_e64 v[10:11], v[34:35], -v[68:69]
	global_wb scope:SCOPE_SE
	s_wait_dscnt 0x0
	s_barrier_signal -1
	s_barrier_wait -1
	global_inv scope:SCOPE_SE
	v_fma_f64 v[6:7], v[14:15], s[12:13], v[8:9]
	v_fma_f64 v[2:3], v[14:15], s[8:9], v[2:3]
	v_add_f64_e64 v[8:9], v[62:63], -v[60:61]
	v_fma_f64 v[44:45], v[12:13], s[16:17], v[16:17]
	v_add_f64_e64 v[14:15], v[38:39], -v[64:65]
	v_add_f64_e64 v[16:17], v[32:33], -v[70:71]
	v_fma_f64 v[46:47], v[4:5], s[16:17], v[6:7]
	v_fma_f64 v[50:51], v[4:5], s[16:17], v[2:3]
	v_add_f64_e64 v[2:3], v[62:63], -v[34:35]
	v_add_f64_e64 v[4:5], v[60:61], -v[68:69]
	;; [unrolled: 1-line block ×3, first 2 shown]
	s_delay_alu instid0(VALU_DEP_2) | instskip(SKIP_1) | instid1(VALU_DEP_3)
	v_add_f64_e32 v[2:3], v[2:3], v[4:5]
	v_add_f64_e32 v[4:5], v[32:33], v[70:71]
	;; [unrolled: 1-line block ×4, first 2 shown]
	s_delay_alu instid0(VALU_DEP_3) | instskip(NEXT) | instid1(VALU_DEP_2)
	v_fma_f64 v[4:5], v[4:5], -0.5, v[56:57]
	v_fma_f64 v[6:7], v[6:7], -0.5, v[58:59]
	s_delay_alu instid0(VALU_DEP_2) | instskip(SKIP_1) | instid1(VALU_DEP_3)
	v_fma_f64 v[12:13], v[8:9], s[14:15], v[4:5]
	v_fma_f64 v[4:5], v[8:9], s[2:3], v[4:5]
	v_fma_f64 v[18:19], v[14:15], s[2:3], v[6:7]
	v_fma_f64 v[6:7], v[14:15], s[14:15], v[6:7]
	s_delay_alu instid0(VALU_DEP_4) | instskip(NEXT) | instid1(VALU_DEP_4)
	v_fma_f64 v[12:13], v[10:11], s[8:9], v[12:13]
	v_fma_f64 v[4:5], v[10:11], s[12:13], v[4:5]
	s_delay_alu instid0(VALU_DEP_4) | instskip(NEXT) | instid1(VALU_DEP_4)
	v_fma_f64 v[18:19], v[16:17], s[12:13], v[18:19]
	v_fma_f64 v[6:7], v[16:17], s[8:9], v[6:7]
	;; [unrolled: 3-line block ×3, first 2 shown]
	v_add_f64_e32 v[0:1], v[38:39], v[64:65]
	v_fma_f64 v[86:87], v[2:3], s[16:17], v[18:19]
	v_add_f64_e64 v[12:13], v[32:33], -v[38:39]
	v_add_f64_e32 v[4:5], v[56:57], v[32:33]
	v_fma_f64 v[142:143], v[2:3], s[16:17], v[6:7]
	v_add_f64_e32 v[6:7], v[58:59], v[34:35]
	v_add_f64_e32 v[2:3], v[62:63], v[60:61]
	v_fma_f64 v[0:1], v[0:1], -0.5, v[56:57]
	v_add_f64_e32 v[12:13], v[12:13], v[20:21]
	v_add_f64_e32 v[4:5], v[4:5], v[38:39]
	;; [unrolled: 1-line block ×3, first 2 shown]
	v_fma_f64 v[2:3], v[2:3], -0.5, v[58:59]
	v_fma_f64 v[18:19], v[10:11], s[2:3], v[0:1]
	v_fma_f64 v[0:1], v[10:11], s[14:15], v[0:1]
	v_add_f64_e64 v[10:11], v[34:35], -v[62:63]
	v_add_f64_e32 v[4:5], v[4:5], v[64:65]
	v_add_f64_e32 v[6:7], v[6:7], v[60:61]
	s_delay_alu instid0(VALU_DEP_4) | instskip(NEXT) | instid1(VALU_DEP_3)
	v_fma_f64 v[0:1], v[8:9], s[12:13], v[0:1]
	v_add_f64_e32 v[36:37], v[4:5], v[70:71]
	v_add_f64_e64 v[4:5], v[68:69], -v[60:61]
	s_delay_alu instid0(VALU_DEP_4)
	v_add_f64_e32 v[38:39], v[6:7], v[68:69]
	v_fma_f64 v[6:7], v[16:17], s[14:15], v[2:3]
	v_fma_f64 v[2:3], v[16:17], s[2:3], v[2:3]
	;; [unrolled: 1-line block ×4, first 2 shown]
	scratch_load_b32 v0, off, off offset:436 th:TH_LOAD_LU ; 4-byte Folded Reload
	s_wait_loadcnt 0x0
	ds_store_b128 v0, v[96:99]
	ds_store_b128 v0, v[120:123] offset:208
	ds_store_b128 v0, v[104:107] offset:416
	;; [unrolled: 1-line block ×4, first 2 shown]
	scratch_load_b32 v0, off, off offset:580 th:TH_LOAD_LU ; 4-byte Folded Reload
	v_add_f64_e32 v[4:5], v[10:11], v[4:5]
	v_fma_f64 v[6:7], v[14:15], s[12:13], v[6:7]
	v_fma_f64 v[2:3], v[14:15], s[8:9], v[2:3]
	;; [unrolled: 1-line block ×3, first 2 shown]
	s_wait_loadcnt 0x0
	ds_store_b128 v0, v[100:103]
	ds_store_b128 v0, v[112:115] offset:208
	ds_store_b128 v0, v[124:127] offset:416
	;; [unrolled: 1-line block ×4, first 2 shown]
	scratch_load_b32 v0, off, off offset:576 th:TH_LOAD_LU ; 4-byte Folded Reload
	v_fma_f64 v[58:59], v[4:5], s[16:17], v[6:7]
	v_fma_f64 v[34:35], v[4:5], s[16:17], v[2:3]
	s_wait_loadcnt 0x0
	ds_store_b128 v0, v[72:75]
	ds_store_b128 v0, v[144:147] offset:208
	ds_store_b128 v0, v[76:79] offset:416
	;; [unrolled: 1-line block ×4, first 2 shown]
	scratch_load_b32 v0, off, off offset:572 th:TH_LOAD_LU ; 4-byte Folded Reload
	s_wait_loadcnt 0x0
	ds_store_b128 v0, v[40:43]
	ds_store_b128 v0, v[88:91] offset:208
	ds_store_b128 v0, v[44:47] offset:416
	;; [unrolled: 1-line block ×4, first 2 shown]
	scratch_load_b32 v0, off, off offset:568 th:TH_LOAD_LU ; 4-byte Folded Reload
	s_wait_loadcnt 0x0
	ds_store_b128 v0, v[36:39]
	ds_store_b128 v0, v[56:59] offset:208
	ds_store_b128 v0, v[84:87] offset:416
	;; [unrolled: 1-line block ×4, first 2 shown]
	global_wb scope:SCOPE_SE
	s_wait_dscnt 0x0
	s_barrier_signal -1
	s_barrier_wait -1
	global_inv scope:SCOPE_SE
	ds_load_b128 v[68:71], v162
	ds_load_b128 v[64:67], v162 offset:624
	ds_load_b128 v[136:139], v162 offset:5200
	;; [unrolled: 1-line block ×23, first 2 shown]
	s_and_saveexec_b32 s1, s0
	s_cbranch_execz .LBB0_19
; %bb.18:
	ds_load_b128 v[32:35], v162 offset:4992
	ds_load_b128 v[52:55], v162 offset:10192
	ds_load_b128 v[0:3], v162 offset:15392
	s_wait_dscnt 0x0
	scratch_store_b128 off, v[0:3], off offset:20 ; 16-byte Folded Spill
.LBB0_19:
	s_wait_alu 0xfffe
	s_or_b32 exec_lo, exec_lo, s1
	s_clause 0x6
	scratch_load_b128 v[4:7], off, off offset:584 th:TH_LOAD_LU
	scratch_load_b128 v[20:23], off, off offset:820 th:TH_LOAD_LU
	;; [unrolled: 1-line block ×7, first 2 shown]
	s_mov_b32 s2, 0xe8584caa
	s_mov_b32 s3, 0xbfebb67a
	;; [unrolled: 1-line block ×3, first 2 shown]
	s_wait_alu 0xfffe
	s_mov_b32 s8, s2
	s_wait_loadcnt_dscnt 0x615
	v_mul_f64_e32 v[0:1], v[6:7], v[138:139]
	v_mul_f64_e32 v[2:3], v[6:7], v[136:137]
	s_wait_loadcnt_dscnt 0x413
	v_mul_f64_e32 v[6:7], v[10:11], v[128:129]
	s_delay_alu instid0(VALU_DEP_3) | instskip(NEXT) | instid1(VALU_DEP_3)
	v_fma_f64 v[0:1], v[4:5], v[136:137], v[0:1]
	v_fma_f64 v[2:3], v[4:5], v[138:139], -v[2:3]
	v_mul_f64_e32 v[4:5], v[10:11], v[130:131]
	s_delay_alu instid0(VALU_DEP_4) | instskip(SKIP_2) | instid1(VALU_DEP_3)
	v_fma_f64 v[6:7], v[8:9], v[130:131], -v[6:7]
	s_wait_loadcnt 0x2
	v_mul_f64_e32 v[10:11], v[14:15], v[124:125]
	v_fma_f64 v[4:5], v[8:9], v[128:129], v[4:5]
	v_mul_f64_e32 v[8:9], v[14:15], v[126:127]
	s_delay_alu instid0(VALU_DEP_3) | instskip(SKIP_2) | instid1(VALU_DEP_3)
	v_fma_f64 v[10:11], v[12:13], v[126:127], -v[10:11]
	s_wait_loadcnt_dscnt 0x12
	v_mul_f64_e32 v[14:15], v[18:19], v[116:117]
	v_fma_f64 v[8:9], v[12:13], v[124:125], v[8:9]
	v_mul_f64_e32 v[12:13], v[18:19], v[118:119]
	s_delay_alu instid0(VALU_DEP_3) | instskip(SKIP_2) | instid1(VALU_DEP_3)
	v_fma_f64 v[14:15], v[16:17], v[118:119], -v[14:15]
	s_wait_dscnt 0xf
	v_mul_f64_e32 v[18:19], v[22:23], v[120:121]
	v_fma_f64 v[12:13], v[16:17], v[116:117], v[12:13]
	v_mul_f64_e32 v[16:17], v[22:23], v[122:123]
	s_delay_alu instid0(VALU_DEP_3) | instskip(SKIP_2) | instid1(VALU_DEP_3)
	v_fma_f64 v[18:19], v[20:21], v[122:123], -v[18:19]
	s_wait_dscnt 0xd
	v_mul_f64_e32 v[22:23], v[26:27], v[112:113]
	v_fma_f64 v[16:17], v[20:21], v[120:121], v[16:17]
	v_mul_f64_e32 v[20:21], v[26:27], v[114:115]
	s_delay_alu instid0(VALU_DEP_3) | instskip(SKIP_1) | instid1(VALU_DEP_3)
	v_fma_f64 v[22:23], v[24:25], v[114:115], -v[22:23]
	v_mul_f64_e32 v[26:27], v[30:31], v[108:109]
	v_fma_f64 v[20:21], v[24:25], v[112:113], v[20:21]
	v_mul_f64_e32 v[24:25], v[30:31], v[110:111]
	s_delay_alu instid0(VALU_DEP_3) | instskip(NEXT) | instid1(VALU_DEP_2)
	v_fma_f64 v[26:27], v[28:29], v[110:111], -v[26:27]
	v_fma_f64 v[24:25], v[28:29], v[108:109], v[24:25]
	scratch_load_b128 v[108:111], off, off offset:900 th:TH_LOAD_LU ; 16-byte Folded Reload
	s_wait_loadcnt_dscnt 0xc
	v_mul_f64_e32 v[28:29], v[110:111], v[102:103]
	v_mul_f64_e32 v[30:31], v[110:111], v[100:101]
	s_delay_alu instid0(VALU_DEP_2) | instskip(NEXT) | instid1(VALU_DEP_2)
	v_fma_f64 v[28:29], v[108:109], v[100:101], v[28:29]
	v_fma_f64 v[30:31], v[108:109], v[102:103], -v[30:31]
	scratch_load_b128 v[108:111], off, off offset:932 th:TH_LOAD_LU ; 16-byte Folded Reload
	s_wait_loadcnt_dscnt 0x9
	v_mul_f64_e32 v[100:101], v[110:111], v[106:107]
	v_mul_f64_e32 v[102:103], v[110:111], v[104:105]
	s_delay_alu instid0(VALU_DEP_2) | instskip(NEXT) | instid1(VALU_DEP_2)
	v_fma_f64 v[100:101], v[108:109], v[104:105], v[100:101]
	v_fma_f64 v[102:103], v[108:109], v[106:107], -v[102:103]
	scratch_load_b128 v[106:109], off, off offset:948 th:TH_LOAD_LU ; 16-byte Folded Reload
	v_add_f64_e32 v[118:119], v[50:51], v[102:103]
	s_wait_loadcnt_dscnt 0x7
	v_mul_f64_e32 v[104:105], v[108:109], v[98:99]
	s_delay_alu instid0(VALU_DEP_1) | instskip(SKIP_1) | instid1(VALU_DEP_1)
	v_fma_f64 v[104:105], v[106:107], v[96:97], v[104:105]
	v_mul_f64_e32 v[96:97], v[108:109], v[96:97]
	v_fma_f64 v[96:97], v[106:107], v[98:99], -v[96:97]
	scratch_load_b128 v[106:109], off, off offset:964 th:TH_LOAD_LU ; 16-byte Folded Reload
	s_wait_loadcnt 0x0
	v_mul_f64_e32 v[98:99], v[108:109], v[94:95]
	s_delay_alu instid0(VALU_DEP_1) | instskip(SKIP_1) | instid1(VALU_DEP_2)
	v_fma_f64 v[98:99], v[106:107], v[92:93], v[98:99]
	v_mul_f64_e32 v[92:93], v[108:109], v[92:93]
	v_add_f64_e32 v[144:145], v[44:45], v[98:99]
	s_delay_alu instid0(VALU_DEP_2) | instskip(SKIP_4) | instid1(VALU_DEP_1)
	v_fma_f64 v[92:93], v[106:107], v[94:95], -v[92:93]
	scratch_load_b128 v[106:109], off, off offset:980 th:TH_LOAD_LU ; 16-byte Folded Reload
	v_add_f64_e32 v[146:147], v[46:47], v[92:93]
	s_wait_loadcnt_dscnt 0x6
	v_mul_f64_e32 v[94:95], v[108:109], v[86:87]
	v_fma_f64 v[94:95], v[106:107], v[84:85], v[94:95]
	v_mul_f64_e32 v[84:85], v[108:109], v[84:85]
	s_delay_alu instid0(VALU_DEP_1) | instskip(SKIP_3) | instid1(VALU_DEP_1)
	v_fma_f64 v[84:85], v[106:107], v[86:87], -v[84:85]
	scratch_load_b128 v[106:109], off, off offset:996 th:TH_LOAD_LU ; 16-byte Folded Reload
	s_wait_loadcnt_dscnt 0x3
	v_mul_f64_e32 v[86:87], v[108:109], v[90:91]
	v_fma_f64 v[123:124], v[106:107], v[88:89], v[86:87]
	v_mul_f64_e32 v[86:87], v[108:109], v[88:89]
	s_delay_alu instid0(VALU_DEP_1) | instskip(SKIP_3) | instid1(VALU_DEP_1)
	v_fma_f64 v[125:126], v[106:107], v[90:91], -v[86:87]
	scratch_load_b128 v[88:91], off, off offset:1012 th:TH_LOAD_LU ; 16-byte Folded Reload
	;; [unrolled: 7-line block ×3, first 2 shown]
	s_wait_loadcnt 0x0
	v_mul_f64_e32 v[80:81], v[88:89], v[78:79]
	v_fma_f64 v[133:134], v[86:87], v[76:77], v[80:81]
	v_mul_f64_e32 v[76:77], v[88:89], v[76:77]
	s_delay_alu instid0(VALU_DEP_1)
	v_fma_f64 v[136:137], v[86:87], v[78:79], -v[76:77]
	scratch_load_b128 v[78:81], off, off offset:1044 th:TH_LOAD_LU ; 16-byte Folded Reload
	global_wb scope:SCOPE_SE
	s_wait_storecnt 0x0
	s_wait_loadcnt_dscnt 0x0
	s_barrier_signal -1
	s_barrier_wait -1
	global_inv scope:SCOPE_SE
	v_mul_f64_e32 v[76:77], v[80:81], v[74:75]
	s_delay_alu instid0(VALU_DEP_1) | instskip(SKIP_1) | instid1(VALU_DEP_1)
	v_fma_f64 v[138:139], v[78:79], v[72:73], v[76:77]
	v_mul_f64_e32 v[72:73], v[80:81], v[72:73]
	v_fma_f64 v[140:141], v[78:79], v[74:75], -v[72:73]
	v_add_f64_e32 v[72:73], v[0:1], v[4:5]
	v_add_f64_e32 v[74:75], v[2:3], v[6:7]
	;; [unrolled: 1-line block ×3, first 2 shown]
	s_delay_alu instid0(VALU_DEP_3) | instskip(SKIP_1) | instid1(VALU_DEP_4)
	v_fma_f64 v[77:78], v[72:73], -0.5, v[68:69]
	v_add_f64_e32 v[72:73], v[8:9], v[12:13]
	v_fma_f64 v[81:82], v[74:75], -0.5, v[70:71]
	v_add_f64_e32 v[74:75], v[58:59], v[26:27]
	v_add_f64_e32 v[68:69], v[68:69], v[0:1]
	;; [unrolled: 1-line block ×3, first 2 shown]
	v_add_f64_e64 v[2:3], v[2:3], -v[6:7]
	v_add_f64_e64 v[0:1], v[0:1], -v[4:5]
	v_fma_f64 v[86:87], v[72:73], -0.5, v[64:65]
	v_add_f64_e32 v[72:73], v[10:11], v[14:15]
	v_add_f64_e32 v[64:65], v[64:65], v[8:9]
	s_delay_alu instid0(VALU_DEP_2) | instskip(SKIP_2) | instid1(VALU_DEP_2)
	v_fma_f64 v[89:90], v[72:73], -0.5, v[66:67]
	v_add_f64_e32 v[72:73], v[16:17], v[20:21]
	v_add_f64_e32 v[66:67], v[66:67], v[10:11]
	v_fma_f64 v[106:107], v[72:73], -0.5, v[60:61]
	v_add_f64_e32 v[72:73], v[18:19], v[22:23]
	s_delay_alu instid0(VALU_DEP_1) | instskip(SKIP_3) | instid1(VALU_DEP_1)
	v_fma_f64 v[108:109], v[72:73], -0.5, v[62:63]
	v_add_f64_e32 v[72:73], v[60:61], v[16:17]
	v_add_f64_e32 v[60:61], v[62:63], v[18:19]
	;; [unrolled: 1-line block ×3, first 2 shown]
	v_fma_f64 v[110:111], v[62:63], -0.5, v[56:57]
	v_add_f64_e32 v[62:63], v[26:27], v[30:31]
	v_add_f64_e32 v[56:57], v[56:57], v[24:25]
	s_delay_alu instid0(VALU_DEP_2) | instskip(SKIP_2) | instid1(VALU_DEP_2)
	v_fma_f64 v[112:113], v[62:63], -0.5, v[58:59]
	v_add_f64_e32 v[58:59], v[100:101], v[104:105]
	v_add_f64_e32 v[61:62], v[60:61], v[22:23]
	v_fma_f64 v[114:115], v[58:59], -0.5, v[48:49]
	v_add_f64_e32 v[48:49], v[98:99], v[94:95]
	v_add_f64_e32 v[58:59], v[102:103], v[96:97]
	s_delay_alu instid0(VALU_DEP_2) | instskip(SKIP_1) | instid1(VALU_DEP_3)
	v_fma_f64 v[120:121], v[48:49], -0.5, v[44:45]
	v_add_f64_e32 v[48:49], v[92:93], v[84:85]
	v_fma_f64 v[116:117], v[58:59], -0.5, v[50:51]
	v_add_f64_e32 v[44:45], v[68:69], v[4:5]
	v_add_f64_e64 v[4:5], v[10:11], -v[14:15]
	v_add_f64_e32 v[50:51], v[66:67], v[14:15]
	v_add_f64_e32 v[67:68], v[79:80], v[104:105]
	s_wait_alu 0xfffe
	v_fma_f64 v[79:80], v[2:3], s[8:9], v[77:78]
	v_add_f64_e32 v[59:60], v[72:73], v[20:21]
	v_add_f64_e64 v[10:11], v[16:17], -v[20:21]
	v_add_f64_e64 v[16:17], v[102:103], -v[96:97]
	;; [unrolled: 1-line block ×4, first 2 shown]
	v_add_nc_u32_e32 v58, 0x4e0, v163
	v_fma_f64 v[142:143], v[48:49], -0.5, v[46:47]
	v_add_f64_e32 v[46:47], v[70:71], v[6:7]
	v_add_f64_e32 v[48:49], v[64:65], v[12:13]
	v_add_f64_e64 v[6:7], v[8:9], -v[12:13]
	v_add_f64_e64 v[8:9], v[18:19], -v[22:23]
	v_add_f64_e32 v[65:66], v[74:75], v[30:31]
	v_fma_f64 v[75:76], v[2:3], s[2:3], v[77:78]
	v_fma_f64 v[77:78], v[0:1], s[8:9], v[81:82]
	;; [unrolled: 1-line block ×3, first 2 shown]
	v_add_f64_e32 v[0:1], v[123:124], v[127:128]
	v_add_f64_e32 v[69:70], v[118:119], v[96:97]
	v_add_f64_e64 v[22:23], v[98:99], -v[94:95]
	v_add_f64_e32 v[71:72], v[144:145], v[94:95]
	v_add_f64_e32 v[73:74], v[146:147], v[84:85]
	v_fma_f64 v[83:84], v[4:5], s[2:3], v[86:87]
	v_fma_f64 v[87:88], v[4:5], s[8:9], v[86:87]
	v_add_f64_e32 v[2:3], v[125:126], v[129:130]
	v_add_f64_e32 v[4:5], v[40:41], v[123:124]
	v_fma_f64 v[93:94], v[10:11], s[8:9], v[108:109]
	v_fma_f64 v[97:98], v[10:11], s[2:3], v[108:109]
	v_add_f64_e64 v[10:11], v[123:124], -v[127:128]
	ds_store_b128 v162, v[44:47]
	ds_store_b128 v162, v[75:78] offset:1040
	ds_store_b128 v162, v[79:82] offset:2080
	v_fma_f64 v[91:92], v[8:9], s[2:3], v[106:107]
	v_fma_f64 v[95:96], v[8:9], s[8:9], v[106:107]
	v_fma_f64 v[0:1], v[0:1], -0.5, v[40:41]
	v_add_f64_e64 v[8:9], v[125:126], -v[129:130]
	v_fma_f64 v[85:86], v[6:7], s[8:9], v[89:90]
	v_fma_f64 v[89:90], v[6:7], s[2:3], v[89:90]
	v_add_f64_e32 v[6:7], v[42:43], v[125:126]
	v_add_f64_e64 v[12:13], v[26:27], -v[30:31]
	v_add_f64_e32 v[63:64], v[56:57], v[28:29]
	v_fma_f64 v[2:3], v[2:3], -0.5, v[42:43]
	v_add_f64_e32 v[40:41], v[4:5], v[127:128]
	v_add_f64_e64 v[18:19], v[100:101], -v[104:105]
	v_fma_f64 v[101:102], v[14:15], s[8:9], v[112:113]
	v_fma_f64 v[105:106], v[14:15], s[2:3], v[112:113]
	;; [unrolled: 1-line block ×3, first 2 shown]
	v_add_f64_e32 v[4:5], v[36:37], v[133:134]
	v_add_nc_u32_e32 v57, 0x750, v163
	v_add_nc_u32_e32 v56, 0x9c0, v163
	v_fma_f64 v[123:124], v[8:9], s[2:3], v[0:1]
	v_fma_f64 v[127:128], v[8:9], s[8:9], v[0:1]
	v_add_f64_e32 v[0:1], v[133:134], v[138:139]
	v_add_f64_e32 v[42:43], v[6:7], v[129:130]
	;; [unrolled: 1-line block ×3, first 2 shown]
	v_add_f64_e64 v[8:9], v[136:137], -v[140:141]
	v_fma_f64 v[125:126], v[10:11], s[8:9], v[2:3]
	v_fma_f64 v[129:130], v[10:11], s[2:3], v[2:3]
	v_add_f64_e32 v[2:3], v[136:137], v[140:141]
	v_fma_f64 v[99:100], v[12:13], s[2:3], v[110:111]
	v_fma_f64 v[103:104], v[12:13], s[8:9], v[110:111]
	;; [unrolled: 1-line block ×9, first 2 shown]
	v_add_f64_e64 v[10:11], v[133:134], -v[138:139]
	v_fma_f64 v[0:1], v[0:1], -0.5, v[36:37]
	v_add_f64_e32 v[36:37], v[4:5], v[138:139]
	v_fma_f64 v[2:3], v[2:3], -0.5, v[38:39]
	v_add_f64_e32 v[38:39], v[6:7], v[140:141]
	s_delay_alu instid0(VALU_DEP_4)
	v_fma_f64 v[136:137], v[8:9], s[2:3], v[0:1]
	v_fma_f64 v[140:141], v[8:9], s[8:9], v[0:1]
	scratch_load_b32 v0, off, off offset:816 th:TH_LOAD_LU ; 4-byte Folded Reload
	s_wait_loadcnt 0x0
	ds_store_b128 v0, v[48:51]
	ds_store_b128 v0, v[83:86] offset:1040
	ds_store_b128 v0, v[87:90] offset:2080
	;; [unrolled: 1-line block ×5, first 2 shown]
	scratch_load_b32 v0, off, off offset:764 th:TH_LOAD_LU ; 4-byte Folded Reload
	v_fma_f64 v[138:139], v[10:11], s[8:9], v[2:3]
	v_fma_f64 v[142:143], v[10:11], s[2:3], v[2:3]
	s_wait_loadcnt 0x0
	ds_store_b128 v0, v[63:66]
	ds_store_b128 v0, v[99:102] offset:1040
	ds_store_b128 v0, v[103:106] offset:2080
	scratch_load_b32 v0, off, off offset:712 th:TH_LOAD_LU ; 4-byte Folded Reload
	s_wait_loadcnt 0x0
	ds_store_b128 v0, v[67:70] offset:6240
	ds_store_b128 v0, v[107:110] offset:7280
	;; [unrolled: 1-line block ×3, first 2 shown]
	scratch_load_b32 v0, off, off offset:676 th:TH_LOAD_LU ; 4-byte Folded Reload
	s_wait_loadcnt 0x0
	ds_store_b128 v0, v[71:74] offset:9360
	ds_store_b128 v0, v[115:118] offset:10400
	;; [unrolled: 1-line block ×3, first 2 shown]
	scratch_load_b32 v0, off, off offset:672 th:TH_LOAD_LU ; 4-byte Folded Reload
	s_wait_loadcnt 0x0
	ds_store_b128 v0, v[40:43]
	ds_store_b128 v0, v[123:126] offset:1040
	ds_store_b128 v0, v[127:130] offset:2080
	scratch_load_b32 v0, off, off offset:652 th:TH_LOAD_LU ; 4-byte Folded Reload
	s_wait_loadcnt 0x0
	ds_store_b128 v0, v[36:39] offset:12480
	ds_store_b128 v0, v[136:139] offset:13520
	ds_store_b128 v0, v[140:143] offset:14560
	s_and_saveexec_b32 s1, s0
	s_cbranch_execz .LBB0_21
; %bb.20:
	s_clause 0x2
	scratch_load_b128 v[8:11], off, off offset:1200 th:TH_LOAD_LU
	scratch_load_b128 v[12:15], off, off offset:1216 th:TH_LOAD_LU
	;; [unrolled: 1-line block ×3, first 2 shown]
	s_wait_loadcnt 0x2
	v_mul_f64_e32 v[4:5], v[10:11], v[54:55]
	s_wait_loadcnt 0x0
	v_mul_f64_e32 v[6:7], v[14:15], v[18:19]
	v_mul_f64_e32 v[0:1], v[10:11], v[52:53]
	;; [unrolled: 1-line block ×3, first 2 shown]
	s_delay_alu instid0(VALU_DEP_4) | instskip(NEXT) | instid1(VALU_DEP_4)
	v_fma_f64 v[4:5], v[8:9], v[52:53], v[4:5]
	v_fma_f64 v[6:7], v[12:13], v[16:17], v[6:7]
	s_delay_alu instid0(VALU_DEP_4) | instskip(NEXT) | instid1(VALU_DEP_4)
	v_fma_f64 v[0:1], v[8:9], v[54:55], -v[0:1]
	v_fma_f64 v[2:3], v[12:13], v[18:19], -v[2:3]
	s_delay_alu instid0(VALU_DEP_3) | instskip(NEXT) | instid1(VALU_DEP_3)
	v_add_f64_e32 v[10:11], v[4:5], v[6:7]
	v_add_f64_e32 v[14:15], v[34:35], v[0:1]
	s_delay_alu instid0(VALU_DEP_3)
	v_add_f64_e32 v[8:9], v[0:1], v[2:3]
	v_add_f64_e64 v[0:1], v[0:1], -v[2:3]
	v_add_f64_e64 v[12:13], v[4:5], -v[6:7]
	v_add_f64_e32 v[4:5], v[32:33], v[4:5]
	v_fma_f64 v[10:11], v[10:11], -0.5, v[32:33]
	v_fma_f64 v[8:9], v[8:9], -0.5, v[34:35]
	v_add_f64_e32 v[34:35], v[14:15], v[2:3]
	s_delay_alu instid0(VALU_DEP_4) | instskip(NEXT) | instid1(VALU_DEP_4)
	v_add_f64_e32 v[32:33], v[4:5], v[6:7]
	v_fma_f64 v[40:41], v[0:1], s[2:3], v[10:11]
	v_fma_f64 v[36:37], v[0:1], s[8:9], v[10:11]
	s_clause 0x1
	scratch_load_b32 v0, off, off offset:16 th:TH_LOAD_LU
	scratch_load_b32 v1, off, off offset:600 th:TH_LOAD_LU
	v_fma_f64 v[42:43], v[12:13], s[8:9], v[8:9]
	v_fma_f64 v[38:39], v[12:13], s[2:3], v[8:9]
	s_wait_loadcnt 0x0
	v_lshl_add_u32 v0, v1, 4, v0
	ds_store_b128 v0, v[32:35] offset:12480
	ds_store_b128 v0, v[40:43] offset:13520
	ds_store_b128 v0, v[36:39] offset:14560
.LBB0_21:
	s_wait_alu 0xfffe
	s_or_b32 exec_lo, exec_lo, s1
	global_wb scope:SCOPE_SE
	s_wait_dscnt 0x0
	s_barrier_signal -1
	s_barrier_wait -1
	global_inv scope:SCOPE_SE
	ds_load_b128 v[44:47], v162 offset:3120
	ds_load_b128 v[48:51], v162 offset:6240
	;; [unrolled: 1-line block ×6, first 2 shown]
	s_clause 0x1
	scratch_load_b128 v[115:118], off, off offset:696 th:TH_LOAD_LU
	scratch_load_b128 v[140:143], off, off offset:768 th:TH_LOAD_LU
	ds_load_b128 v[67:70], v162 offset:6864
	ds_load_b128 v[71:74], v162 offset:8736
	scratch_load_b128 v[119:122], off, off offset:784 th:TH_LOAD_LU ; 16-byte Folded Reload
	ds_load_b128 v[75:78], v162 offset:9984
	ds_load_b128 v[79:82], v162 offset:13104
	;; [unrolled: 1-line block ×3, first 2 shown]
	s_mov_b32 s2, 0x134454ff
	s_mov_b32 s3, 0xbfee6f0e
	s_wait_alu 0xfffe
	s_mov_b32 s14, s2
	s_mov_b32 s0, 0x4755a5e
	;; [unrolled: 1-line block ×3, first 2 shown]
	s_wait_alu 0xfffe
	s_mov_b32 s12, s0
	s_mov_b32 s8, 0x372fe950
	;; [unrolled: 1-line block ×3, first 2 shown]
	s_wait_loadcnt_dscnt 0x20a
	v_mul_f64_e32 v[0:1], v[117:118], v[46:47]
	s_wait_loadcnt_dscnt 0x108
	v_mul_f64_e32 v[8:9], v[142:143], v[54:55]
	v_mul_f64_e32 v[10:11], v[142:143], v[52:53]
	scratch_load_b128 v[142:145], off, off offset:732 th:TH_LOAD_LU ; 16-byte Folded Reload
	v_mul_f64_e32 v[2:3], v[117:118], v[44:45]
	s_wait_loadcnt 0x1
	v_mul_f64_e32 v[4:5], v[121:122], v[50:51]
	v_mul_f64_e32 v[6:7], v[121:122], v[48:49]
	v_fma_f64 v[127:128], v[115:116], v[44:45], v[0:1]
	v_fma_f64 v[138:139], v[140:141], v[52:53], v[8:9]
	v_fma_f64 v[140:141], v[140:141], v[54:55], -v[10:11]
	v_fma_f64 v[129:130], v[115:116], v[46:47], -v[2:3]
	v_fma_f64 v[133:134], v[119:120], v[48:49], v[4:5]
	v_fma_f64 v[136:137], v[119:120], v[50:51], -v[6:7]
	s_wait_loadcnt_dscnt 0x7
	v_mul_f64_e32 v[12:13], v[144:145], v[61:62]
	v_mul_f64_e32 v[14:15], v[144:145], v[59:60]
	scratch_load_b128 v[144:147], off, off offset:656 th:TH_LOAD_LU ; 16-byte Folded Reload
	ds_load_b128 v[87:90], v162
	ds_load_b128 v[91:94], v162 offset:624
	scratch_load_b128 v[148:151], off, off offset:680 th:TH_LOAD_LU ; 16-byte Folded Reload
	ds_load_b128 v[95:98], v162 offset:10608
	ds_load_b128 v[40:43], v162 offset:1248
	;; [unrolled: 1-line block ×4, first 2 shown]
	scratch_load_b128 v[154:157], off, off offset:800 th:TH_LOAD_LU ; 16-byte Folded Reload
	ds_load_b128 v[103:106], v162 offset:8112
	ds_load_b128 v[107:110], v162 offset:13728
	;; [unrolled: 1-line block ×7, first 2 shown]
	s_clause 0x3
	scratch_load_b128 v[163:166], off, off offset:604 th:TH_LOAD_LU
	scratch_load_b128 v[167:170], off, off offset:620 th:TH_LOAD_LU
	;; [unrolled: 1-line block ×4, first 2 shown]
	v_fma_f64 v[44:45], v[142:143], v[59:60], v[12:13]
	v_fma_f64 v[46:47], v[142:143], v[61:62], -v[14:15]
	ds_load_b128 v[59:62], v162 offset:14976
	s_wait_loadcnt_dscnt 0x614
	v_mul_f64_e32 v[16:17], v[146:147], v[65:66]
	v_mul_f64_e32 v[18:19], v[146:147], v[63:64]
	s_wait_loadcnt_dscnt 0x512
	v_mul_f64_e32 v[20:21], v[150:151], v[69:70]
	v_mul_f64_e32 v[22:23], v[150:151], v[67:68]
	;; [unrolled: 3-line block ×3, first 2 shown]
	scratch_load_b128 v[156:159], off, off offset:748 th:TH_LOAD_LU ; 16-byte Folded Reload
	s_wait_loadcnt_dscnt 0x408
	v_mul_f64_e32 v[4:5], v[165:166], v[101:102]
	v_mul_f64_e32 v[8:9], v[165:166], v[99:100]
	s_wait_loadcnt_dscnt 0x204
	v_mul_f64_e32 v[146:147], v[179:180], v[115:116]
	s_wait_loadcnt 0x1
	v_mul_f64_e32 v[12:13], v[173:174], v[97:98]
	v_mul_f64_e32 v[142:143], v[173:174], v[95:96]
	scratch_load_b128 v[173:176], off, off offset:1060 th:TH_LOAD_LU ; 16-byte Folded Reload
	v_fma_f64 v[63:64], v[144:145], v[63:64], v[16:17]
	v_fma_f64 v[65:66], v[144:145], v[65:66], -v[18:19]
	v_mul_f64_e32 v[144:145], v[179:180], v[117:118]
	scratch_load_b128 v[179:182], off, off offset:1092 th:TH_LOAD_LU ; 16-byte Folded Reload
	v_fma_f64 v[20:21], v[148:149], v[67:68], v[20:21]
	v_fma_f64 v[67:68], v[148:149], v[69:70], -v[22:23]
	v_fma_f64 v[48:49], v[154:155], v[75:76], v[24:25]
	v_fma_f64 v[50:51], v[154:155], v[77:78], -v[26:27]
	v_mul_f64_e32 v[16:17], v[169:170], v[109:110]
	v_mul_f64_e32 v[18:19], v[169:170], v[107:108]
	v_fma_f64 v[99:100], v[163:164], v[99:100], v[4:5]
	v_fma_f64 v[101:102], v[163:164], v[101:102], -v[8:9]
	v_add_f64_e32 v[163:164], v[129:130], v[46:47]
	v_fma_f64 v[95:96], v[171:172], v[95:96], v[12:13]
	v_fma_f64 v[97:98], v[171:172], v[97:98], -v[142:143]
	v_add_f64_e32 v[142:143], v[91:92], v[63:64]
	v_fma_f64 v[22:23], v[167:168], v[107:108], v[16:17]
	v_fma_f64 v[107:108], v[177:178], v[115:116], v[144:145]
	v_add_f64_e32 v[115:116], v[67:68], v[50:51]
	v_fma_f64 v[18:19], v[167:168], v[109:110], -v[18:19]
	v_fma_f64 v[109:110], v[177:178], v[117:118], -v[146:147]
	v_add_f64_e64 v[117:118], v[133:134], -v[127:128]
	v_add_f64_e64 v[146:147], v[67:68], -v[50:51]
	v_add_f64_e32 v[167:168], v[101:102], v[97:98]
	v_fma_f64 v[115:116], v[115:116], -0.5, v[93:94]
	v_add_f64_e64 v[193:194], v[18:19], -v[97:98]
	s_wait_loadcnt 0x2
	v_mul_f64_e32 v[28:29], v[158:159], v[81:82]
	v_mul_f64_e32 v[30:31], v[158:159], v[79:80]
	scratch_load_b128 v[158:161], off, off offset:716 th:TH_LOAD_LU ; 16-byte Folded Reload
	s_wait_loadcnt_dscnt 0x200
	v_mul_f64_e32 v[165:166], v[175:176], v[59:60]
	s_wait_loadcnt 0x1
	v_mul_f64_e32 v[69:70], v[181:182], v[105:106]
	v_mul_f64_e32 v[148:149], v[181:182], v[103:104]
	scratch_load_b128 v[181:184], off, off offset:1108 th:TH_LOAD_LU ; 16-byte Folded Reload
	v_fma_f64 v[10:11], v[156:157], v[79:80], v[28:29]
	v_fma_f64 v[6:7], v[156:157], v[81:82], -v[30:31]
	v_fma_f64 v[69:70], v[179:180], v[103:104], v[69:70]
	v_fma_f64 v[103:104], v[179:180], v[105:106], -v[148:149]
	v_add_f64_e64 v[148:149], v[63:64], -v[20:21]
	v_add_f64_e64 v[179:180], v[101:102], -v[97:98]
	;; [unrolled: 1-line block ×3, first 2 shown]
	s_wait_loadcnt 0x1
	v_mul_f64_e32 v[0:1], v[160:161], v[85:86]
	v_mul_f64_e32 v[2:3], v[160:161], v[83:84]
	v_add_f64_e32 v[160:161], v[136:137], v[140:141]
	s_wait_loadcnt 0x0
	v_mul_f64_e32 v[150:151], v[183:184], v[125:126]
	v_mul_f64_e32 v[152:153], v[183:184], v[123:124]
	scratch_load_b128 v[183:186], off, off offset:1124 th:TH_LOAD_LU ; 16-byte Folded Reload
	v_fma_f64 v[83:84], v[158:159], v[83:84], v[0:1]
	v_fma_f64 v[14:15], v[158:159], v[85:86], -v[2:3]
	v_mul_f64_e32 v[0:1], v[175:176], v[61:62]
	v_add_f64_e32 v[85:86], v[133:134], v[138:139]
	v_add_f64_e32 v[158:159], v[127:128], v[44:45]
	v_fma_f64 v[105:106], v[160:161], -0.5, v[89:90]
	v_add_f64_e64 v[160:161], v[63:64], -v[10:11]
	v_fma_f64 v[30:31], v[181:182], v[123:124], v[150:151]
	v_fma_f64 v[26:27], v[181:182], v[125:126], -v[152:153]
	v_add_f64_e64 v[152:153], v[20:21], -v[63:64]
	v_add_f64_e64 v[125:126], v[136:137], -v[129:130]
	;; [unrolled: 1-line block ×3, first 2 shown]
	v_fma_f64 v[8:9], v[173:174], v[59:60], v[0:1]
	v_add_f64_e32 v[59:60], v[63:64], v[10:11]
	v_fma_f64 v[0:1], v[173:174], v[61:62], -v[165:166]
	v_add_f64_e64 v[61:62], v[127:128], -v[133:134]
	v_add_f64_e32 v[63:64], v[83:84], v[22:23]
	v_add_f64_e64 v[165:166], v[65:66], -v[67:68]
	v_add_f64_e32 v[175:176], v[40:41], v[83:84]
	v_add_f64_e64 v[150:151], v[10:11], -v[48:49]
	v_add_f64_e64 v[177:178], v[14:15], -v[18:19]
	;; [unrolled: 1-line block ×4, first 2 shown]
	v_fma_f64 v[59:60], v[59:60], -0.5, v[91:92]
	v_add_f64_e32 v[148:149], v[148:149], v[150:151]
	s_wait_loadcnt 0x0
	v_mul_f64_e32 v[24:25], v[185:186], v[113:114]
	v_mul_f64_e32 v[75:76], v[185:186], v[111:112]
	scratch_load_b128 v[185:188], off, off offset:1140 th:TH_LOAD_LU ; 16-byte Folded Reload
	v_fma_f64 v[4:5], v[183:184], v[111:112], v[24:25]
	v_add_f64_e64 v[111:112], v[133:134], -v[138:139]
	v_fma_f64 v[2:3], v[183:184], v[113:114], -v[75:76]
	v_add_f64_e64 v[113:114], v[44:45], -v[138:139]
	v_add_f64_e64 v[183:184], v[22:23], -v[95:96]
	s_delay_alu instid0(VALU_DEP_2)
	v_add_f64_e32 v[61:62], v[61:62], v[113:114]
	s_wait_loadcnt 0x0
	v_mul_f64_e32 v[77:78], v[187:188], v[121:122]
	v_mul_f64_e32 v[154:155], v[187:188], v[119:120]
	scratch_load_b128 v[187:190], off, off offset:1156 th:TH_LOAD_LU ; 16-byte Folded Reload
	v_fma_f64 v[24:25], v[185:186], v[119:120], v[77:78]
	v_add_f64_e64 v[77:78], v[129:130], -v[46:47]
	v_add_f64_e64 v[119:120], v[138:139], -v[44:45]
	v_fma_f64 v[75:76], v[185:186], v[121:122], -v[154:155]
	v_add_f64_e64 v[121:122], v[129:130], -v[136:137]
	v_add_f64_e64 v[154:155], v[48:49], -v[10:11]
	;; [unrolled: 1-line block ×4, first 2 shown]
	v_add_f64_e32 v[113:114], v[117:118], v[119:120]
	v_add_f64_e32 v[119:120], v[121:122], v[123:124]
	v_fma_f64 v[123:124], v[167:168], -0.5, v[42:43]
	v_add_f64_e32 v[150:151], v[152:153], v[154:155]
	v_add_f64_e32 v[167:168], v[24:25], v[8:9]
	s_wait_loadcnt 0x0
	v_mul_f64_e32 v[28:29], v[189:190], v[73:74]
	v_mul_f64_e32 v[79:80], v[189:190], v[71:72]
	scratch_load_b128 v[189:192], off, off offset:1172 th:TH_LOAD_LU ; 16-byte Folded Reload
	v_fma_f64 v[28:29], v[187:188], v[71:72], v[28:29]
	v_fma_f64 v[71:72], v[187:188], v[73:74], -v[79:80]
	v_add_f64_e32 v[73:74], v[20:21], v[48:49]
	v_fma_f64 v[79:80], v[85:86], -0.5, v[87:88]
	v_fma_f64 v[85:86], v[158:159], -0.5, v[87:88]
	v_add_f64_e32 v[158:159], v[93:94], v[65:66]
	v_add_f64_e32 v[187:188], v[42:43], v[14:15]
	v_fma_f64 v[73:74], v[73:74], -0.5, v[91:92]
	v_add_f64_e64 v[91:92], v[67:68], -v[65:66]
	s_delay_alu instid0(VALU_DEP_4) | instskip(NEXT) | instid1(VALU_DEP_4)
	v_add_f64_e32 v[67:68], v[158:159], v[67:68]
	v_add_f64_e32 v[152:153], v[187:188], v[101:102]
	v_fma_f64 v[187:188], v[83:84], s[14:15], v[123:124]
	s_delay_alu instid0(VALU_DEP_4) | instskip(NEXT) | instid1(VALU_DEP_4)
	v_add_f64_e32 v[91:92], v[91:92], v[173:174]
	v_add_f64_e32 v[67:68], v[67:68], v[50:51]
	s_delay_alu instid0(VALU_DEP_4)
	v_add_f64_e32 v[152:153], v[152:153], v[97:98]
	v_add_f64_e64 v[97:98], v[97:98], -v[18:19]
	s_wait_loadcnt 0x0
	v_mul_f64_e32 v[81:82], v[191:192], v[54:55]
	v_mul_f64_e32 v[156:157], v[191:192], v[52:53]
	v_add_f64_e64 v[191:192], v[14:15], -v[101:102]
	s_delay_alu instid0(VALU_DEP_3) | instskip(NEXT) | instid1(VALU_DEP_3)
	v_fma_f64 v[16:17], v[189:190], v[52:53], v[81:82]
	v_fma_f64 v[12:13], v[189:190], v[54:55], -v[156:157]
	v_add_f64_e32 v[52:53], v[87:88], v[127:128]
	v_add_f64_e32 v[54:55], v[89:90], v[129:130]
	v_add_f64_e64 v[81:82], v[136:137], -v[140:141]
	v_add_f64_e64 v[87:88], v[127:128], -v[44:45]
	v_fma_f64 v[89:90], v[163:164], -0.5, v[89:90]
	v_add_f64_e32 v[156:157], v[99:100], v[95:96]
	v_add_f64_e32 v[127:128], v[65:66], v[6:7]
	v_fma_f64 v[65:66], v[77:78], s[2:3], v[79:80]
	v_fma_f64 v[79:80], v[77:78], s[14:15], v[79:80]
	v_add_f64_e64 v[129:130], v[140:141], -v[46:47]
	v_add_f64_e64 v[163:164], v[20:21], -v[48:49]
	v_add_f64_e32 v[20:21], v[142:143], v[20:21]
	v_add_f64_e32 v[142:143], v[109:110], v[2:3]
	v_add_f64_e64 v[189:190], v[99:100], -v[95:96]
	v_add_f64_e32 v[99:100], v[175:176], v[99:100]
	v_add_f64_e32 v[52:53], v[52:53], v[133:134]
	v_add_f64_e32 v[54:55], v[54:55], v[136:137]
	v_fma_f64 v[136:137], v[81:82], s[14:15], v[85:86]
	v_fma_f64 v[85:86], v[81:82], s[2:3], v[85:86]
	;; [unrolled: 1-line block ×6, first 2 shown]
	v_fma_f64 v[117:118], v[156:157], -0.5, v[40:41]
	v_fma_f64 v[40:41], v[63:64], -0.5, v[40:41]
	;; [unrolled: 1-line block ×3, first 2 shown]
	v_fma_f64 v[65:66], v[81:82], s[0:1], v[65:66]
	s_wait_alu 0xfffe
	v_fma_f64 v[79:80], v[81:82], s[12:13], v[79:80]
	v_add_f64_e32 v[121:122], v[125:126], v[129:130]
	v_fma_f64 v[63:64], v[144:145], s[2:3], v[73:74]
	v_fma_f64 v[125:126], v[146:147], s[14:15], v[59:60]
	;; [unrolled: 1-line block ×3, first 2 shown]
	v_add_f64_e32 v[129:130], v[69:70], v[30:31]
	v_add_f64_e64 v[133:134], v[6:7], -v[50:51]
	v_fma_f64 v[73:74], v[144:145], s[14:15], v[73:74]
	v_add_f64_e32 v[156:157], v[28:29], v[16:17]
	v_add_f64_e32 v[20:21], v[20:21], v[48:49]
	v_add_f64_e64 v[127:128], v[95:96], -v[22:23]
	v_add_f64_e32 v[95:96], v[99:100], v[95:96]
	v_add_f64_e32 v[52:53], v[52:53], v[138:139]
	;; [unrolled: 1-line block ×3, first 2 shown]
	v_fma_f64 v[81:82], v[77:78], s[0:1], v[136:137]
	v_fma_f64 v[77:78], v[77:78], s[12:13], v[85:86]
	;; [unrolled: 1-line block ×6, first 2 shown]
	v_add_f64_e32 v[89:90], v[14:15], v[18:19]
	v_fma_f64 v[136:137], v[160:161], s[14:15], v[115:116]
	v_fma_f64 v[115:116], v[160:161], s[2:3], v[115:116]
	v_add_f64_e32 v[138:139], v[107:108], v[4:5]
	v_add_f64_e32 v[140:141], v[103:104], v[26:27]
	v_fma_f64 v[175:176], v[179:180], s[14:15], v[40:41]
	v_fma_f64 v[40:41], v[179:180], s[2:3], v[40:41]
	v_add_f64_e32 v[169:170], v[71:72], v[12:13]
	v_fma_f64 v[154:155], v[177:178], s[2:3], v[117:118]
	v_fma_f64 v[158:159], v[163:164], s[2:3], v[93:94]
	;; [unrolled: 3-line block ×3, first 2 shown]
	v_fma_f64 v[125:126], v[144:145], s[0:1], v[125:126]
	v_fma_f64 v[144:145], v[144:145], s[12:13], v[59:60]
	;; [unrolled: 1-line block ×5, first 2 shown]
	v_add_f64_e64 v[14:15], v[101:102], -v[14:15]
	v_add_f64_e32 v[127:128], v[185:186], v[127:128]
	v_add_f64_e64 v[185:186], v[8:9], -v[16:17]
	v_add_f64_e32 v[10:11], v[20:21], v[10:11]
	v_add_f64_e32 v[20:21], v[95:96], v[22:23]
	;; [unrolled: 1-line block ×5, first 2 shown]
	v_fma_f64 v[52:53], v[61:62], s[8:9], v[79:80]
	v_fma_f64 v[59:60], v[113:114], s[8:9], v[81:82]
	;; [unrolled: 1-line block ×4, first 2 shown]
	v_add_f64_e32 v[85:86], v[36:37], v[107:108]
	v_fma_f64 v[63:64], v[113:114], s[8:9], v[77:78]
	v_fma_f64 v[42:43], v[89:90], -0.5, v[42:43]
	v_fma_f64 v[61:62], v[121:122], s[8:9], v[111:112]
	v_fma_f64 v[105:106], v[163:164], s[0:1], v[115:116]
	v_add_f64_e32 v[115:116], v[38:39], v[109:110]
	v_fma_f64 v[65:66], v[121:122], s[8:9], v[87:88]
	v_fma_f64 v[87:88], v[129:130], -0.5, v[36:37]
	v_add_f64_e64 v[89:90], v[109:110], -v[2:3]
	v_add_f64_e64 v[113:114], v[103:104], -v[26:27]
	v_fma_f64 v[36:37], v[138:139], -0.5, v[36:37]
	v_fma_f64 v[119:120], v[140:141], -0.5, v[38:39]
	v_add_f64_e64 v[121:122], v[107:108], -v[4:5]
	v_fma_f64 v[77:78], v[83:84], s[2:3], v[123:124]
	v_add_f64_e64 v[123:124], v[69:70], -v[30:31]
	v_fma_f64 v[38:39], v[142:143], -0.5, v[38:39]
	v_add_f64_e32 v[81:82], v[165:166], v[133:134]
	v_add_f64_e32 v[133:134], v[32:33], v[24:25]
	v_fma_f64 v[146:147], v[177:178], s[12:13], v[40:41]
	v_add_f64_e32 v[40:41], v[34:35], v[75:76]
	v_fma_f64 v[79:80], v[163:164], s[12:13], v[136:137]
	v_fma_f64 v[99:100], v[179:180], s[0:1], v[154:155]
	v_fma_f64 v[136:137], v[156:157], -0.5, v[32:33]
	v_add_f64_e64 v[138:139], v[75:76], -v[0:1]
	v_fma_f64 v[154:155], v[169:170], -0.5, v[34:35]
	v_add_f64_e64 v[156:157], v[24:25], -v[8:9]
	v_fma_f64 v[111:112], v[160:161], s[12:13], v[158:159]
	v_fma_f64 v[93:94], v[160:161], s[0:1], v[93:94]
	v_add_f64_e64 v[142:143], v[71:72], -v[12:13]
	v_fma_f64 v[32:33], v[167:168], -0.5, v[32:33]
	v_add_f64_e64 v[160:161], v[28:29], -v[16:17]
	v_fma_f64 v[34:35], v[171:172], -0.5, v[34:35]
	v_fma_f64 v[140:141], v[177:178], s[0:1], v[175:176]
	v_add_f64_e64 v[167:168], v[107:108], -v[69:70]
	v_add_f64_e64 v[169:170], v[4:5], -v[30:31]
	;; [unrolled: 1-line block ×4, first 2 shown]
	v_fma_f64 v[117:118], v[179:180], s[12:13], v[117:118]
	v_add_f64_e32 v[129:130], v[181:182], v[183:184]
	v_fma_f64 v[158:159], v[189:190], s[12:13], v[187:188]
	v_add_f64_e32 v[163:164], v[191:192], v[193:194]
	v_add_f64_e64 v[183:184], v[24:25], -v[28:29]
	v_add_f64_e64 v[191:192], v[75:76], -v[71:72]
	;; [unrolled: 1-line block ×4, first 2 shown]
	v_add_f64_e32 v[97:98], v[14:15], v[97:98]
	v_fma_f64 v[14:15], v[148:149], s[8:9], v[195:196]
	v_fma_f64 v[165:166], v[189:190], s[2:3], v[42:43]
	;; [unrolled: 1-line block ×3, first 2 shown]
	v_add_f64_e32 v[85:86], v[85:86], v[69:70]
	v_add_f64_e32 v[115:116], v[115:116], v[103:104]
	v_fma_f64 v[101:102], v[89:90], s[2:3], v[87:88]
	v_fma_f64 v[87:88], v[89:90], s[14:15], v[87:88]
	;; [unrolled: 1-line block ×4, first 2 shown]
	v_add_f64_e64 v[69:70], v[69:70], -v[107:108]
	v_add_f64_e64 v[107:108], v[30:31], -v[4:5]
	v_fma_f64 v[119:120], v[121:122], s[2:3], v[119:120]
	v_fma_f64 v[179:180], v[123:124], s[2:3], v[38:39]
	v_add_f64_e64 v[103:104], v[103:104], -v[109:110]
	v_add_f64_e64 v[109:110], v[26:27], -v[2:3]
	v_fma_f64 v[36:37], v[113:114], s[2:3], v[36:37]
	v_fma_f64 v[38:39], v[123:124], s[14:15], v[38:39]
	v_add_f64_e32 v[133:134], v[133:134], v[28:29]
	v_add_f64_e32 v[40:41], v[40:41], v[71:72]
	v_fma_f64 v[77:78], v[189:190], s[0:1], v[77:78]
	v_fma_f64 v[181:182], v[138:139], s[2:3], v[136:137]
	;; [unrolled: 1-line block ×5, first 2 shown]
	v_add_f64_e64 v[28:29], v[16:17], -v[8:9]
	v_fma_f64 v[197:198], v[160:161], s[2:3], v[34:35]
	v_add_f64_e64 v[71:72], v[71:72], -v[75:76]
	v_add_f64_e64 v[75:76], v[12:13], -v[0:1]
	v_fma_f64 v[32:33], v[142:143], s[2:3], v[32:33]
	v_fma_f64 v[34:35], v[160:161], s[14:15], v[34:35]
	;; [unrolled: 1-line block ×3, first 2 shown]
	v_add_f64_e32 v[167:168], v[167:168], v[169:170]
	s_mov_b32 s2, 0xaa677344
	s_mov_b32 s3, 0x3f50cdd9
	v_fma_f64 v[165:166], v[83:84], s[12:13], v[165:166]
	v_fma_f64 v[83:84], v[83:84], s[0:1], v[42:43]
	v_add_f64_e32 v[85:86], v[85:86], v[30:31]
	v_add_f64_e32 v[115:116], v[115:116], v[26:27]
	v_fma_f64 v[101:102], v[113:114], s[0:1], v[101:102]
	v_fma_f64 v[87:88], v[113:114], s[12:13], v[87:88]
	;; [unrolled: 1-line block ×4, first 2 shown]
	v_add_f64_e32 v[171:172], v[175:176], v[177:178]
	v_add_f64_e32 v[107:108], v[69:70], v[107:108]
	v_fma_f64 v[119:120], v[123:124], s[0:1], v[119:120]
	v_fma_f64 v[123:124], v[121:122], s[12:13], v[179:180]
	v_add_f64_e32 v[173:174], v[183:184], v[185:186]
	v_add_f64_e32 v[103:104], v[103:104], v[109:110]
	v_fma_f64 v[89:90], v[89:90], s[12:13], v[36:37]
	v_fma_f64 v[109:110], v[121:122], s[0:1], v[38:39]
	v_add_f64_e32 v[121:122], v[133:134], v[16:17]
	v_add_f64_e32 v[177:178], v[40:41], v[12:13]
	;; [unrolled: 1-line block ×3, first 2 shown]
	v_fma_f64 v[133:134], v[142:143], s[0:1], v[181:182]
	v_fma_f64 v[179:180], v[160:161], s[12:13], v[189:190]
	v_add_f64_e32 v[181:182], v[191:192], v[193:194]
	v_fma_f64 v[136:137], v[142:143], s[12:13], v[136:137]
	v_fma_f64 v[142:143], v[138:139], s[0:1], v[187:188]
	v_add_f64_e32 v[175:176], v[24:25], v[28:29]
	v_fma_f64 v[183:184], v[156:157], s[12:13], v[197:198]
	v_add_f64_e32 v[185:186], v[71:72], v[75:76]
	v_fma_f64 v[138:139], v[138:139], s[12:13], v[32:33]
	v_fma_f64 v[156:157], v[156:157], s[0:1], v[34:35]
	v_fma_f64 v[154:155], v[160:161], s[0:1], v[154:155]
	v_fma_f64 v[16:17], v[81:82], s[8:9], v[79:80]
	v_fma_f64 v[28:29], v[150:151], s[8:9], v[125:126]
	v_fma_f64 v[30:31], v[91:92], s[8:9], v[111:112]
	v_fma_f64 v[32:33], v[150:151], s[8:9], v[144:145]
	v_fma_f64 v[34:35], v[91:92], s[8:9], v[93:94]
	v_fma_f64 v[24:25], v[148:149], s[8:9], v[73:74]
	v_fma_f64 v[26:27], v[81:82], s[8:9], v[105:106]
	v_fma_f64 v[36:37], v[129:130], s[8:9], v[99:100]
	v_fma_f64 v[38:39], v[163:164], s[8:9], v[158:159]
	v_fma_f64 v[67:68], v[127:128], s[8:9], v[140:141]
	v_fma_f64 v[71:72], v[127:128], s[8:9], v[146:147]
	v_fma_f64 v[40:41], v[129:130], s[8:9], v[117:118]
	v_fma_f64 v[42:43], v[163:164], s[8:9], v[77:78]
	v_fma_f64 v[69:70], v[97:98], s[8:9], v[165:166]
	v_fma_f64 v[73:74], v[97:98], s[8:9], v[83:84]
	v_add_f64_e32 v[4:5], v[85:86], v[4:5]
	v_add_f64_e32 v[6:7], v[115:116], v[2:3]
	v_fma_f64 v[75:76], v[167:168], s[8:9], v[101:102]
	v_fma_f64 v[77:78], v[171:172], s[8:9], v[169:170]
	;; [unrolled: 1-line block ×7, first 2 shown]
	v_add_f64_e32 v[91:92], v[121:122], v[8:9]
	v_add_f64_e32 v[93:94], v[177:178], v[0:1]
	v_fma_f64 v[81:82], v[171:172], s[8:9], v[119:120]
	v_fma_f64 v[95:96], v[173:174], s[8:9], v[133:134]
	;; [unrolled: 1-line block ×9, first 2 shown]
	ds_store_b128 v162, v[44:47]
	ds_store_b128 v162, v[10:13] offset:624
	ds_store_b128 v162, v[59:62] offset:6240
	;; [unrolled: 1-line block ×24, first 2 shown]
	global_wb scope:SCOPE_SE
	s_wait_dscnt 0x0
	s_barrier_signal -1
	s_barrier_wait -1
	global_inv scope:SCOPE_SE
	ds_load_b128 v[0:3], v162
	ds_load_b128 v[4:7], v162 offset:1200
	s_clause 0x2
	scratch_load_b128 v[18:21], off, off offset:164 th:TH_LOAD_LU
	scratch_load_b128 v[24:27], off, off offset:180 th:TH_LOAD_LU
	;; [unrolled: 1-line block ×3, first 2 shown]
	s_wait_loadcnt_dscnt 0x201
	v_mul_f64_e32 v[8:9], v[20:21], v[2:3]
	v_mul_f64_e32 v[12:13], v[20:21], v[0:1]
	s_wait_loadcnt_dscnt 0x100
	v_mul_f64_e32 v[14:15], v[26:27], v[6:7]
	v_mul_f64_e32 v[16:17], v[26:27], v[4:5]
	s_delay_alu instid0(VALU_DEP_4)
	v_fma_f64 v[20:21], v[18:19], v[0:1], v[8:9]
	scratch_load_b64 v[0:1], off, off offset:1188 th:TH_LOAD_LU ; 8-byte Folded Reload
	v_fma_f64 v[22:23], v[18:19], v[2:3], -v[12:13]
	ds_load_b128 v[8:11], v162 offset:2400
	v_fma_f64 v[50:51], v[24:25], v[4:5], v[14:15]
	v_fma_f64 v[52:53], v[24:25], v[6:7], -v[16:17]
	ds_load_b128 v[4:7], v162 offset:4800
	s_wait_alu 0xfffe
	v_mul_f64_e32 v[20:21], s[2:3], v[20:21]
	v_mul_f64_e32 v[22:23], s[2:3], v[22:23]
	s_wait_loadcnt 0x0
	v_mov_b32_e32 v13, v0
	scratch_load_b64 v[0:1], off, off th:TH_LOAD_LU ; 8-byte Folded Reload
	s_wait_loadcnt 0x0
	v_mov_b32_e32 v26, v0
	v_mad_co_u64_u32 v[44:45], null, s6, v13, 0
	ds_load_b128 v[0:3], v162 offset:3600
	s_wait_dscnt 0x2
	v_mul_f64_e32 v[54:55], v[80:81], v[10:11]
	v_mul_f64_e32 v[56:57], v[80:81], v[8:9]
	v_mad_co_u64_u32 v[48:49], null, s4, v26, 0
	v_mov_b32_e32 v12, v45
	s_delay_alu instid0(VALU_DEP_1) | instskip(NEXT) | instid1(VALU_DEP_3)
	v_mad_co_u64_u32 v[24:25], null, s7, v13, v[12:13]
	v_mov_b32_e32 v25, v49
	ds_load_b128 v[12:15], v162 offset:6000
	ds_load_b128 v[16:19], v162 offset:7200
	s_clause 0x1
	scratch_load_b128 v[96:99], off, off offset:52 th:TH_LOAD_LU
	scratch_load_b128 v[114:117], off, off offset:212 th:TH_LOAD_LU
	ds_load_b128 v[40:43], v162 offset:13200
	s_mul_u64 s[6:7], s[4:5], 0x4b
	v_mad_co_u64_u32 v[32:33], null, s5, v26, v[25:26]
	s_wait_alu 0xfffe
	s_lshl_b64 s[6:7], s[6:7], 4
	v_mov_b32_e32 v45, v24
	ds_load_b128 v[24:27], v162 offset:8400
	ds_load_b128 v[28:31], v162 offset:9600
	;; [unrolled: 1-line block ×3, first 2 shown]
	v_mov_b32_e32 v49, v32
	ds_load_b128 v[32:35], v162 offset:10800
	v_lshlrev_b64_e32 v[66:67], 4, v[44:45]
	ds_load_b128 v[44:47], v162 offset:14400
	v_lshlrev_b64_e32 v[68:69], 4, v[48:49]
	v_mul_f64_e32 v[48:49], s[2:3], v[50:51]
	v_mul_f64_e32 v[50:51], s[2:3], v[52:53]
	v_add_co_u32 v66, s0, s10, v66
	s_wait_alu 0xf1ff
	v_add_co_ci_u32_e64 v67, s0, s11, v67, s0
	v_fma_f64 v[8:9], v[78:79], v[8:9], v[54:55]
	v_fma_f64 v[10:11], v[78:79], v[10:11], -v[56:57]
	s_wait_loadcnt_dscnt 0x108
	v_mul_f64_e32 v[58:59], v[98:99], v[2:3]
	v_mul_f64_e32 v[60:61], v[98:99], v[0:1]
	scratch_load_b128 v[98:101], off, off offset:68 th:TH_LOAD_LU ; 16-byte Folded Reload
	s_wait_loadcnt_dscnt 0x102
	v_mul_f64_e32 v[84:85], v[116:117], v[38:39]
	v_mul_f64_e32 v[86:87], v[116:117], v[36:37]
	scratch_load_b128 v[116:119], off, off offset:228 th:TH_LOAD_LU ; 16-byte Folded Reload
	v_fma_f64 v[58:59], v[96:97], v[0:1], v[58:59]
	v_fma_f64 v[60:61], v[96:97], v[2:3], -v[60:61]
	v_add_co_u32 v0, s0, v66, v68
	v_mul_f64_e32 v[2:3], s[2:3], v[10:11]
	s_wait_alu 0xf1ff
	v_add_co_ci_u32_e64 v1, s0, v67, v69, s0
	s_wait_loadcnt 0x1
	v_mul_f64_e32 v[62:63], v[100:101], v[6:7]
	v_mul_f64_e32 v[64:65], v[100:101], v[4:5]
	scratch_load_b128 v[100:103], off, off offset:84 th:TH_LOAD_LU ; 16-byte Folded Reload
	s_wait_loadcnt_dscnt 0x100
	v_mul_f64_e32 v[92:93], v[118:119], v[46:47]
	v_mul_f64_e32 v[94:95], v[118:119], v[44:45]
	v_fma_f64 v[62:63], v[98:99], v[4:5], v[62:63]
	s_wait_alu 0xfffe
	v_add_co_u32 v4, s0, v0, s6
	v_fma_f64 v[64:65], v[98:99], v[6:7], -v[64:65]
	v_mul_f64_e32 v[6:7], s[2:3], v[60:61]
	s_wait_alu 0xf1ff
	v_add_co_ci_u32_e64 v5, s0, s7, v1, s0
	s_delay_alu instid0(VALU_DEP_3)
	v_mul_f64_e32 v[10:11], s[2:3], v[64:65]
	s_wait_loadcnt 0x0
	v_mul_f64_e32 v[70:71], v[102:103], v[14:15]
	v_mul_f64_e32 v[72:73], v[102:103], v[12:13]
	scratch_load_b128 v[102:105], off, off offset:100 th:TH_LOAD_LU ; 16-byte Folded Reload
	v_fma_f64 v[12:13], v[100:101], v[12:13], v[70:71]
	v_fma_f64 v[14:15], v[100:101], v[14:15], -v[72:73]
	s_delay_alu instid0(VALU_DEP_2) | instskip(NEXT) | instid1(VALU_DEP_2)
	v_mul_f64_e32 v[12:13], s[2:3], v[12:13]
	v_mul_f64_e32 v[14:15], s[2:3], v[14:15]
	s_wait_loadcnt 0x0
	v_mul_f64_e32 v[74:75], v[104:105], v[18:19]
	v_mul_f64_e32 v[76:77], v[104:105], v[16:17]
	scratch_load_b128 v[104:107], off, off offset:116 th:TH_LOAD_LU ; 16-byte Folded Reload
	v_fma_f64 v[16:17], v[102:103], v[16:17], v[74:75]
	v_fma_f64 v[18:19], v[102:103], v[18:19], -v[76:77]
	s_delay_alu instid0(VALU_DEP_2) | instskip(NEXT) | instid1(VALU_DEP_2)
	v_mul_f64_e32 v[16:17], s[2:3], v[16:17]
	v_mul_f64_e32 v[18:19], s[2:3], v[18:19]
	s_wait_loadcnt 0x0
	v_mul_f64_e32 v[52:53], v[106:107], v[26:27]
	v_mul_f64_e32 v[54:55], v[106:107], v[24:25]
	scratch_load_b128 v[106:109], off, off offset:132 th:TH_LOAD_LU ; 16-byte Folded Reload
	s_wait_loadcnt 0x0
	v_mul_f64_e32 v[56:57], v[108:109], v[30:31]
	v_mul_f64_e32 v[78:79], v[108:109], v[28:29]
	scratch_load_b128 v[108:111], off, off offset:148 th:TH_LOAD_LU ; 16-byte Folded Reload
	s_wait_loadcnt 0x0
	v_mul_f64_e32 v[80:81], v[110:111], v[34:35]
	v_mul_f64_e32 v[82:83], v[110:111], v[32:33]
	scratch_load_b128 v[110:113], off, off offset:196 th:TH_LOAD_LU ; 16-byte Folded Reload
	s_clause 0x1
	global_store_b128 v[0:1], v[20:23], off
	global_store_b128 v[4:5], v[48:51], off
	v_fma_f64 v[20:21], v[104:105], v[24:25], v[52:53]
	v_fma_f64 v[22:23], v[104:105], v[26:27], -v[54:55]
	v_fma_f64 v[24:25], v[106:107], v[28:29], v[56:57]
	v_fma_f64 v[26:27], v[106:107], v[30:31], -v[78:79]
	v_mul_f64_e32 v[0:1], s[2:3], v[8:9]
	v_mul_f64_e32 v[8:9], s[2:3], v[62:63]
	v_fma_f64 v[28:29], v[108:109], v[32:33], v[80:81]
	v_fma_f64 v[30:31], v[108:109], v[34:35], -v[82:83]
	v_fma_f64 v[32:33], v[114:115], v[36:37], v[84:85]
	v_fma_f64 v[34:35], v[114:115], v[38:39], -v[86:87]
	v_mul_f64_e32 v[20:21], s[2:3], v[20:21]
	v_mul_f64_e32 v[22:23], s[2:3], v[22:23]
	;; [unrolled: 1-line block ×8, first 2 shown]
	s_wait_loadcnt 0x0
	v_mul_f64_e32 v[88:89], v[112:113], v[42:43]
	v_mul_f64_e32 v[90:91], v[112:113], v[40:41]
	s_delay_alu instid0(VALU_DEP_2) | instskip(NEXT) | instid1(VALU_DEP_2)
	v_fma_f64 v[36:37], v[110:111], v[40:41], v[88:89]
	v_fma_f64 v[38:39], v[110:111], v[42:43], -v[90:91]
	v_fma_f64 v[40:41], v[116:117], v[44:45], v[92:93]
	v_fma_f64 v[42:43], v[116:117], v[46:47], -v[94:95]
	v_add_co_u32 v44, s0, v4, s6
	s_wait_alu 0xf1ff
	v_add_co_ci_u32_e64 v45, s0, s7, v5, s0
	v_mul_f64_e32 v[4:5], s[2:3], v[58:59]
	s_delay_alu instid0(VALU_DEP_3) | instskip(SKIP_1) | instid1(VALU_DEP_3)
	v_add_co_u32 v46, s0, v44, s6
	s_wait_alu 0xf1ff
	v_add_co_ci_u32_e64 v47, s0, s7, v45, s0
	global_store_b128 v[44:45], v[0:3], off
	v_add_co_u32 v48, s0, v46, s6
	s_wait_alu 0xf1ff
	v_add_co_ci_u32_e64 v49, s0, s7, v47, s0
	s_delay_alu instid0(VALU_DEP_2) | instskip(SKIP_1) | instid1(VALU_DEP_2)
	v_add_co_u32 v50, s0, v48, s6
	s_wait_alu 0xf1ff
	v_add_co_ci_u32_e64 v51, s0, s7, v49, s0
	s_delay_alu instid0(VALU_DEP_2) | instskip(SKIP_1) | instid1(VALU_DEP_2)
	;; [unrolled: 4-line block ×4, first 2 shown]
	v_add_co_u32 v2, s0, v0, s6
	s_wait_alu 0xf1ff
	v_add_co_ci_u32_e64 v3, s0, s7, v1, s0
	v_mul_f64_e32 v[36:37], s[2:3], v[36:37]
	v_mul_f64_e32 v[38:39], s[2:3], v[38:39]
	;; [unrolled: 1-line block ×4, first 2 shown]
	global_store_b128 v[46:47], v[4:7], off
	v_add_co_u32 v4, s0, v2, s6
	global_store_b128 v[48:49], v[8:11], off
	global_store_b128 v[50:51], v[12:15], off
	;; [unrolled: 1-line block ×4, first 2 shown]
	s_wait_alu 0xf1ff
	v_add_co_ci_u32_e64 v5, s0, s7, v3, s0
	v_add_co_u32 v6, s0, v4, s6
	s_wait_alu 0xf1ff
	s_delay_alu instid0(VALU_DEP_2) | instskip(NEXT) | instid1(VALU_DEP_2)
	v_add_co_ci_u32_e64 v7, s0, s7, v5, s0
	v_add_co_u32 v8, s0, v6, s6
	s_wait_alu 0xf1ff
	s_delay_alu instid0(VALU_DEP_2) | instskip(NEXT) | instid1(VALU_DEP_2)
	v_add_co_ci_u32_e64 v9, s0, s7, v7, s0
	v_add_co_u32 v0, s0, v8, s6
	s_wait_alu 0xf1ff
	s_delay_alu instid0(VALU_DEP_2)
	v_add_co_ci_u32_e64 v1, s0, s7, v9, s0
	global_store_b128 v[2:3], v[24:27], off
	global_store_b128 v[4:5], v[28:31], off
	;; [unrolled: 1-line block ×5, first 2 shown]
	s_and_b32 exec_lo, exec_lo, vcc_lo
	s_cbranch_execz .LBB0_23
; %bb.22:
	scratch_load_b64 v[16:17], off, off offset:8 th:TH_LOAD_LU ; 8-byte Folded Reload
	s_mul_i32 s0, s5, 0xffffca30
	s_wait_alu 0xfffe
	s_sub_co_i32 s0, s0, s4
	s_wait_loadcnt 0x0
	global_load_b128 v[2:5], v[16:17], off offset:624
	ds_load_b128 v[6:9], v162 offset:624
	ds_load_b128 v[10:13], v162 offset:1824
	s_wait_loadcnt_dscnt 0x1
	v_mul_f64_e32 v[14:15], v[8:9], v[4:5]
	v_mul_f64_e32 v[4:5], v[6:7], v[4:5]
	s_delay_alu instid0(VALU_DEP_2) | instskip(NEXT) | instid1(VALU_DEP_2)
	v_fma_f64 v[6:7], v[6:7], v[2:3], v[14:15]
	v_fma_f64 v[4:5], v[2:3], v[8:9], -v[4:5]
	s_delay_alu instid0(VALU_DEP_2) | instskip(NEXT) | instid1(VALU_DEP_2)
	v_mul_f64_e32 v[2:3], s[2:3], v[6:7]
	v_mul_f64_e32 v[4:5], s[2:3], v[4:5]
	v_mad_co_u64_u32 v[6:7], null, 0xffffca30, s4, v[0:1]
	s_wait_alu 0xfffe
	s_delay_alu instid0(VALU_DEP_1)
	v_add_nc_u32_e32 v7, s0, v7
	global_store_b128 v[6:7], v[2:5], off
	global_load_b128 v[0:3], v[16:17], off offset:1824
	s_wait_loadcnt_dscnt 0x0
	v_mul_f64_e32 v[4:5], v[12:13], v[2:3]
	v_mul_f64_e32 v[2:3], v[10:11], v[2:3]
	s_delay_alu instid0(VALU_DEP_2) | instskip(NEXT) | instid1(VALU_DEP_2)
	v_fma_f64 v[4:5], v[10:11], v[0:1], v[4:5]
	v_fma_f64 v[2:3], v[0:1], v[12:13], -v[2:3]
	v_add_co_u32 v12, vcc_lo, v6, s6
	s_wait_alu 0xfffd
	v_add_co_ci_u32_e32 v13, vcc_lo, s7, v7, vcc_lo
	s_delay_alu instid0(VALU_DEP_4) | instskip(NEXT) | instid1(VALU_DEP_4)
	v_mul_f64_e32 v[0:1], s[2:3], v[4:5]
	v_mul_f64_e32 v[2:3], s[2:3], v[2:3]
	global_store_b128 v[12:13], v[0:3], off
	global_load_b128 v[0:3], v[16:17], off offset:3024
	ds_load_b128 v[4:7], v162 offset:3024
	ds_load_b128 v[8:11], v162 offset:4224
	s_wait_loadcnt_dscnt 0x1
	v_mul_f64_e32 v[14:15], v[6:7], v[2:3]
	v_mul_f64_e32 v[2:3], v[4:5], v[2:3]
	s_delay_alu instid0(VALU_DEP_2) | instskip(NEXT) | instid1(VALU_DEP_2)
	v_fma_f64 v[4:5], v[4:5], v[0:1], v[14:15]
	v_fma_f64 v[2:3], v[0:1], v[6:7], -v[2:3]
	s_delay_alu instid0(VALU_DEP_2) | instskip(NEXT) | instid1(VALU_DEP_2)
	v_mul_f64_e32 v[0:1], s[2:3], v[4:5]
	v_mul_f64_e32 v[2:3], s[2:3], v[2:3]
	v_add_co_u32 v4, vcc_lo, v12, s6
	s_wait_alu 0xfffd
	v_add_co_ci_u32_e32 v5, vcc_lo, s7, v13, vcc_lo
	s_delay_alu instid0(VALU_DEP_2) | instskip(SKIP_1) | instid1(VALU_DEP_2)
	v_add_co_u32 v12, vcc_lo, v4, s6
	s_wait_alu 0xfffd
	v_add_co_ci_u32_e32 v13, vcc_lo, s7, v5, vcc_lo
	global_store_b128 v[4:5], v[0:3], off
	global_load_b128 v[0:3], v[16:17], off offset:4224
	s_wait_loadcnt_dscnt 0x0
	v_mul_f64_e32 v[6:7], v[10:11], v[2:3]
	v_mul_f64_e32 v[2:3], v[8:9], v[2:3]
	s_delay_alu instid0(VALU_DEP_2) | instskip(NEXT) | instid1(VALU_DEP_2)
	v_fma_f64 v[6:7], v[8:9], v[0:1], v[6:7]
	v_fma_f64 v[2:3], v[0:1], v[10:11], -v[2:3]
	s_delay_alu instid0(VALU_DEP_2) | instskip(NEXT) | instid1(VALU_DEP_2)
	v_mul_f64_e32 v[0:1], s[2:3], v[6:7]
	v_mul_f64_e32 v[2:3], s[2:3], v[2:3]
	global_store_b128 v[12:13], v[0:3], off
	global_load_b128 v[0:3], v[16:17], off offset:5424
	ds_load_b128 v[4:7], v162 offset:5424
	ds_load_b128 v[8:11], v162 offset:6624
	s_wait_loadcnt_dscnt 0x1
	v_mul_f64_e32 v[14:15], v[6:7], v[2:3]
	v_mul_f64_e32 v[2:3], v[4:5], v[2:3]
	s_delay_alu instid0(VALU_DEP_2) | instskip(NEXT) | instid1(VALU_DEP_2)
	v_fma_f64 v[4:5], v[4:5], v[0:1], v[14:15]
	v_fma_f64 v[2:3], v[0:1], v[6:7], -v[2:3]
	s_delay_alu instid0(VALU_DEP_2) | instskip(NEXT) | instid1(VALU_DEP_2)
	v_mul_f64_e32 v[0:1], s[2:3], v[4:5]
	v_mul_f64_e32 v[2:3], s[2:3], v[2:3]
	v_add_co_u32 v4, vcc_lo, v12, s6
	s_wait_alu 0xfffd
	v_add_co_ci_u32_e32 v5, vcc_lo, s7, v13, vcc_lo
	s_delay_alu instid0(VALU_DEP_2) | instskip(SKIP_1) | instid1(VALU_DEP_2)
	v_add_co_u32 v12, vcc_lo, v4, s6
	s_wait_alu 0xfffd
	v_add_co_ci_u32_e32 v13, vcc_lo, s7, v5, vcc_lo
	global_store_b128 v[4:5], v[0:3], off
	global_load_b128 v[0:3], v[16:17], off offset:6624
	s_wait_loadcnt_dscnt 0x0
	v_mul_f64_e32 v[6:7], v[10:11], v[2:3]
	v_mul_f64_e32 v[2:3], v[8:9], v[2:3]
	s_delay_alu instid0(VALU_DEP_2) | instskip(NEXT) | instid1(VALU_DEP_2)
	v_fma_f64 v[6:7], v[8:9], v[0:1], v[6:7]
	v_fma_f64 v[2:3], v[0:1], v[10:11], -v[2:3]
	s_delay_alu instid0(VALU_DEP_2) | instskip(NEXT) | instid1(VALU_DEP_2)
	;; [unrolled: 31-line block ×4, first 2 shown]
	v_mul_f64_e32 v[0:1], s[2:3], v[6:7]
	v_mul_f64_e32 v[2:3], s[2:3], v[2:3]
	global_store_b128 v[12:13], v[0:3], off
	global_load_b128 v[0:3], v[16:17], off offset:12624
	ds_load_b128 v[4:7], v162 offset:12624
	ds_load_b128 v[8:11], v162 offset:13824
	s_wait_loadcnt_dscnt 0x1
	v_mul_f64_e32 v[14:15], v[6:7], v[2:3]
	v_mul_f64_e32 v[2:3], v[4:5], v[2:3]
	s_delay_alu instid0(VALU_DEP_2) | instskip(NEXT) | instid1(VALU_DEP_2)
	v_fma_f64 v[4:5], v[4:5], v[0:1], v[14:15]
	v_fma_f64 v[2:3], v[0:1], v[6:7], -v[2:3]
	s_delay_alu instid0(VALU_DEP_2) | instskip(NEXT) | instid1(VALU_DEP_2)
	v_mul_f64_e32 v[0:1], s[2:3], v[4:5]
	v_mul_f64_e32 v[2:3], s[2:3], v[2:3]
	v_add_co_u32 v4, vcc_lo, v12, s6
	s_wait_alu 0xfffd
	v_add_co_ci_u32_e32 v5, vcc_lo, s7, v13, vcc_lo
	global_store_b128 v[4:5], v[0:3], off
	global_load_b128 v[0:3], v[16:17], off offset:13824
	s_wait_loadcnt_dscnt 0x0
	v_mul_f64_e32 v[6:7], v[10:11], v[2:3]
	v_mul_f64_e32 v[2:3], v[8:9], v[2:3]
	s_delay_alu instid0(VALU_DEP_2) | instskip(NEXT) | instid1(VALU_DEP_2)
	v_fma_f64 v[6:7], v[8:9], v[0:1], v[6:7]
	v_fma_f64 v[2:3], v[0:1], v[10:11], -v[2:3]
	v_add_co_u32 v8, vcc_lo, v4, s6
	s_wait_alu 0xfffd
	v_add_co_ci_u32_e32 v9, vcc_lo, s7, v5, vcc_lo
	s_delay_alu instid0(VALU_DEP_4) | instskip(NEXT) | instid1(VALU_DEP_4)
	v_mul_f64_e32 v[0:1], s[2:3], v[6:7]
	v_mul_f64_e32 v[2:3], s[2:3], v[2:3]
	ds_load_b128 v[4:7], v162 offset:15024
	global_store_b128 v[8:9], v[0:3], off
	global_load_b128 v[0:3], v[16:17], off offset:15024
	s_wait_loadcnt_dscnt 0x0
	v_mul_f64_e32 v[10:11], v[6:7], v[2:3]
	v_mul_f64_e32 v[2:3], v[4:5], v[2:3]
	s_delay_alu instid0(VALU_DEP_2) | instskip(NEXT) | instid1(VALU_DEP_2)
	v_fma_f64 v[4:5], v[4:5], v[0:1], v[10:11]
	v_fma_f64 v[2:3], v[0:1], v[6:7], -v[2:3]
	s_delay_alu instid0(VALU_DEP_2) | instskip(NEXT) | instid1(VALU_DEP_2)
	v_mul_f64_e32 v[0:1], s[2:3], v[4:5]
	v_mul_f64_e32 v[2:3], s[2:3], v[2:3]
	v_add_co_u32 v4, vcc_lo, v8, s6
	s_wait_alu 0xfffd
	v_add_co_ci_u32_e32 v5, vcc_lo, s7, v9, vcc_lo
	global_store_b128 v[4:5], v[0:3], off
.LBB0_23:
	s_nop 0
	s_sendmsg sendmsg(MSG_DEALLOC_VGPRS)
	s_endpgm
	.section	.rodata,"a",@progbits
	.p2align	6, 0x0
	.amdhsa_kernel bluestein_single_fwd_len975_dim1_dp_op_CI_CI
		.amdhsa_group_segment_fixed_size 46800
		.amdhsa_private_segment_fixed_size 1236
		.amdhsa_kernarg_size 104
		.amdhsa_user_sgpr_count 2
		.amdhsa_user_sgpr_dispatch_ptr 0
		.amdhsa_user_sgpr_queue_ptr 0
		.amdhsa_user_sgpr_kernarg_segment_ptr 1
		.amdhsa_user_sgpr_dispatch_id 0
		.amdhsa_user_sgpr_private_segment_size 0
		.amdhsa_wavefront_size32 1
		.amdhsa_uses_dynamic_stack 0
		.amdhsa_enable_private_segment 1
		.amdhsa_system_sgpr_workgroup_id_x 1
		.amdhsa_system_sgpr_workgroup_id_y 0
		.amdhsa_system_sgpr_workgroup_id_z 0
		.amdhsa_system_sgpr_workgroup_info 0
		.amdhsa_system_vgpr_workitem_id 0
		.amdhsa_next_free_vgpr 256
		.amdhsa_next_free_sgpr 48
		.amdhsa_reserve_vcc 1
		.amdhsa_float_round_mode_32 0
		.amdhsa_float_round_mode_16_64 0
		.amdhsa_float_denorm_mode_32 3
		.amdhsa_float_denorm_mode_16_64 3
		.amdhsa_fp16_overflow 0
		.amdhsa_workgroup_processor_mode 1
		.amdhsa_memory_ordered 1
		.amdhsa_forward_progress 0
		.amdhsa_round_robin_scheduling 0
		.amdhsa_exception_fp_ieee_invalid_op 0
		.amdhsa_exception_fp_denorm_src 0
		.amdhsa_exception_fp_ieee_div_zero 0
		.amdhsa_exception_fp_ieee_overflow 0
		.amdhsa_exception_fp_ieee_underflow 0
		.amdhsa_exception_fp_ieee_inexact 0
		.amdhsa_exception_int_div_zero 0
	.end_amdhsa_kernel
	.text
.Lfunc_end0:
	.size	bluestein_single_fwd_len975_dim1_dp_op_CI_CI, .Lfunc_end0-bluestein_single_fwd_len975_dim1_dp_op_CI_CI
                                        ; -- End function
	.section	.AMDGPU.csdata,"",@progbits
; Kernel info:
; codeLenInByte = 39324
; NumSgprs: 50
; NumVgprs: 256
; ScratchSize: 1236
; MemoryBound: 0
; FloatMode: 240
; IeeeMode: 1
; LDSByteSize: 46800 bytes/workgroup (compile time only)
; SGPRBlocks: 6
; VGPRBlocks: 31
; NumSGPRsForWavesPerEU: 50
; NumVGPRsForWavesPerEU: 256
; Occupancy: 2
; WaveLimiterHint : 1
; COMPUTE_PGM_RSRC2:SCRATCH_EN: 1
; COMPUTE_PGM_RSRC2:USER_SGPR: 2
; COMPUTE_PGM_RSRC2:TRAP_HANDLER: 0
; COMPUTE_PGM_RSRC2:TGID_X_EN: 1
; COMPUTE_PGM_RSRC2:TGID_Y_EN: 0
; COMPUTE_PGM_RSRC2:TGID_Z_EN: 0
; COMPUTE_PGM_RSRC2:TIDIG_COMP_CNT: 0
	.text
	.p2alignl 7, 3214868480
	.fill 96, 4, 3214868480
	.type	__hip_cuid_4d5454a0f93966df,@object ; @__hip_cuid_4d5454a0f93966df
	.section	.bss,"aw",@nobits
	.globl	__hip_cuid_4d5454a0f93966df
__hip_cuid_4d5454a0f93966df:
	.byte	0                               ; 0x0
	.size	__hip_cuid_4d5454a0f93966df, 1

	.ident	"AMD clang version 19.0.0git (https://github.com/RadeonOpenCompute/llvm-project roc-6.4.0 25133 c7fe45cf4b819c5991fe208aaa96edf142730f1d)"
	.section	".note.GNU-stack","",@progbits
	.addrsig
	.addrsig_sym __hip_cuid_4d5454a0f93966df
	.amdgpu_metadata
---
amdhsa.kernels:
  - .args:
      - .actual_access:  read_only
        .address_space:  global
        .offset:         0
        .size:           8
        .value_kind:     global_buffer
      - .actual_access:  read_only
        .address_space:  global
        .offset:         8
        .size:           8
        .value_kind:     global_buffer
      - .actual_access:  read_only
        .address_space:  global
        .offset:         16
        .size:           8
        .value_kind:     global_buffer
      - .actual_access:  read_only
        .address_space:  global
        .offset:         24
        .size:           8
        .value_kind:     global_buffer
      - .actual_access:  read_only
        .address_space:  global
        .offset:         32
        .size:           8
        .value_kind:     global_buffer
      - .offset:         40
        .size:           8
        .value_kind:     by_value
      - .address_space:  global
        .offset:         48
        .size:           8
        .value_kind:     global_buffer
      - .address_space:  global
        .offset:         56
        .size:           8
        .value_kind:     global_buffer
      - .address_space:  global
        .offset:         64
        .size:           8
        .value_kind:     global_buffer
      - .address_space:  global
        .offset:         72
        .size:           8
        .value_kind:     global_buffer
      - .offset:         80
        .size:           4
        .value_kind:     by_value
      - .address_space:  global
        .offset:         88
        .size:           8
        .value_kind:     global_buffer
      - .address_space:  global
        .offset:         96
        .size:           8
        .value_kind:     global_buffer
    .group_segment_fixed_size: 46800
    .kernarg_segment_align: 8
    .kernarg_segment_size: 104
    .language:       OpenCL C
    .language_version:
      - 2
      - 0
    .max_flat_workgroup_size: 117
    .name:           bluestein_single_fwd_len975_dim1_dp_op_CI_CI
    .private_segment_fixed_size: 1236
    .sgpr_count:     50
    .sgpr_spill_count: 0
    .symbol:         bluestein_single_fwd_len975_dim1_dp_op_CI_CI.kd
    .uniform_work_group_size: 1
    .uses_dynamic_stack: false
    .vgpr_count:     256
    .vgpr_spill_count: 316
    .wavefront_size: 32
    .workgroup_processor_mode: 1
amdhsa.target:   amdgcn-amd-amdhsa--gfx1201
amdhsa.version:
  - 1
  - 2
...

	.end_amdgpu_metadata
